;; amdgpu-corpus repo=zjin-lcf/HeCBench kind=compiled arch=gfx906 opt=O3
	.amdgcn_target "amdgcn-amd-amdhsa--gfx906"
	.amdhsa_code_object_version 6
	.text
	.protected	_Z11init_facexyiiiiiiiiPd ; -- Begin function _Z11init_facexyiiiiiiiiPd
	.globl	_Z11init_facexyiiiiiiiiPd
	.p2align	8
	.type	_Z11init_facexyiiiiiiiiPd,@function
_Z11init_facexyiiiiiiiiPd:              ; @_Z11init_facexyiiiiiiiiPd
; %bb.0:
	s_load_dword s0, s[4:5], 0x34
	s_load_dwordx2 s[10:11], s[4:5], 0x10
	s_waitcnt lgkmcnt(0)
	s_and_b32 s1, s0, 0xffff
	s_mul_i32 s9, s6, s1
	v_add_u32_e32 v4, s9, v0
	v_cmp_gt_i32_e32 vcc, s10, v4
	s_and_saveexec_b64 s[2:3], vcc
	s_cbranch_execz .LBB0_13
; %bb.1:
	s_load_dword s1, s[4:5], 0x38
	s_load_dwordx4 s[12:15], s[4:5], 0x0
	s_lshr_b32 s0, s0, 16
	s_mul_i32 s7, s7, s0
	v_add_u32_e32 v1, s7, v1
	s_waitcnt lgkmcnt(0)
	s_and_b32 s0, s1, 0xffff
	s_and_b32 s0, s0, 0xffff
	s_mul_i32 s8, s8, s0
	v_add_u32_e32 v3, s8, v2
	v_cmp_gt_i32_e32 vcc, s11, v1
	v_cmp_gt_i32_e64 s[0:1], 8, v3
	s_and_b64 s[0:1], vcc, s[0:1]
	s_cmp_gt_i32 s14, 0
	s_cselect_b64 s[2:3], -1, 0
	s_mov_b32 s6, 0
	s_and_b64 s[0:1], s[0:1], s[2:3]
	s_and_b64 exec, exec, s[0:1]
	s_cbranch_execz .LBB0_13
; %bb.2:
	s_load_dword s7, s[4:5], 0x1c
	s_load_dwordx2 s[2:3], s[4:5], 0x20
	v_and_b32_e32 v2, 4, v3
	v_cmp_ne_u32_e32 vcc, 0, v2
	v_add_u32_e32 v4, s12, v4
	s_waitcnt lgkmcnt(0)
	v_mov_b32_e32 v5, s7
	v_cndmask_b32_e32 v2, 3, v5, vcc
	v_add3_u32 v5, v1, s13, v2
	v_mad_u64_u32 v[1:2], s[4:5], v3, s11, v[1:2]
	v_sub_u32_e32 v2, v4, v5
	s_mul_i32 s4, s15, s14
	v_mul_lo_u32 v4, s10, v1
	v_and_b32_e32 v2, 3, v2
	v_xor_b32_e32 v2, 2, v2
	v_lshlrev_b32_e64 v1, v2, 1
	v_add3_u32 v0, v0, v4, s9
	v_mul_lo_u32 v5, s4, v0
	v_mul_lo_u32 v0, s14, v0
	v_add_u32_e32 v3, 1, v3
	s_cmp_gt_i32 s15, 0
	v_cvt_f64_u32_e32 v[1:2], v1
	v_lshlrev_b32_e32 v0, 2, v0
	v_mul_lo_u32 v6, s15, v0
	v_or_b32_e32 v7, 2, v0
	v_or_b32_e32 v0, 3, v0
	v_cvt_f64_i32_e32 v[3:4], v3
	v_mul_lo_u32 v7, s15, v7
	v_mul_lo_u32 v9, s15, v0
	s_cselect_b64 s[0:1], -1, 0
	v_cndmask_b32_e64 v0, 0, 1, s[0:1]
	v_lshlrev_b32_e32 v5, 2, v5
	s_lshl_b32 s4, s15, 2
	v_add_u32_e32 v11, s15, v6
	v_cmp_ne_u32_e64 s[0:1], 1, v0
	s_branch .LBB0_4
.LBB0_3:                                ;   in Loop: Header=BB0_4 Depth=1
	s_add_i32 s6, s6, 1
	v_add_u32_e32 v5, s4, v5
	v_add_u32_e32 v11, s4, v11
	;; [unrolled: 1-line block ×3, first 2 shown]
	s_cmp_eq_u32 s6, s14
	v_add_u32_e32 v9, s4, v9
	s_cbranch_scc1 .LBB0_13
.LBB0_4:                                ; =>This Loop Header: Depth=1
                                        ;     Child Loop BB0_6 Depth 2
                                        ;     Child Loop BB0_8 Depth 2
	;; [unrolled: 1-line block ×4, first 2 shown]
	s_and_b64 vcc, exec, s[0:1]
	s_cbranch_vccnz .LBB0_3
; %bb.5:                                ;   in Loop: Header=BB0_4 Depth=1
	s_mul_i32 s5, s6, 0x556
	s_add_i32 s5, s5, 0x24d69
	s_mul_hi_u32 s7, s5, 0x77f2655b
	s_sub_i32 s8, s5, s7
	s_lshr_b32 s8, s8, 1
	s_add_i32 s8, s8, s7
	s_lshr_b32 s7, s8, 19
	s_mul_i32 s7, s7, 0xae529
	s_sub_i32 s5, s5, s7
	s_and_b32 s5, s5, 3
	v_ashrrev_i32_e32 v6, 31, v5
	s_lshl_b32 s5, 1, s5
	v_lshlrev_b64 v[15:16], 3, v[5:6]
	v_cvt_f64_u32_e32 v[13:14], s5
	v_mov_b32_e32 v0, s3
	v_add_co_u32_e32 v15, vcc, s2, v15
	v_addc_co_u32_e32 v16, vcc, v0, v16, vcc
	s_mov_b32 s5, 0
.LBB0_6:                                ;   Parent Loop BB0_4 Depth=1
                                        ; =>  This Inner Loop Header: Depth=2
	s_add_i32 s7, s5, 1
	s_and_b32 s5, s5, 7
	s_lshl_b32 s5, 1, s5
	v_cvt_f64_u32_e32 v[17:18], s7
	v_cvt_f64_u32_e32 v[19:20], s5
	s_mov_b32 s5, s7
	s_cmp_eq_u32 s15, s7
	v_mul_f64 v[17:18], v[17:18], v[19:20]
	v_mul_f64 v[17:18], v[17:18], v[1:2]
	;; [unrolled: 1-line block ×3, first 2 shown]
	v_add_f64 v[17:18], v[17:18], v[17:18]
	v_mul_f64 v[17:18], v[17:18], v[3:4]
	global_store_dwordx2 v[15:16], v[17:18], off
	v_add_co_u32_e32 v15, vcc, 8, v15
	v_addc_co_u32_e32 v16, vcc, 0, v16, vcc
	s_cbranch_scc0 .LBB0_6
; %bb.7:                                ;   in Loop: Header=BB0_4 Depth=1
	v_ashrrev_i32_e32 v12, 31, v11
	v_lshlrev_b64 v[15:16], 3, v[11:12]
	v_mov_b32_e32 v0, s3
	v_add_co_u32_e32 v15, vcc, s2, v15
	v_addc_co_u32_e32 v16, vcc, v0, v16, vcc
	s_mov_b32 s5, 0
.LBB0_8:                                ;   Parent Loop BB0_4 Depth=1
                                        ; =>  This Inner Loop Header: Depth=2
	s_add_i32 s7, s5, 1
	s_and_b32 s5, s5, 7
	s_lshl_b32 s5, 1, s5
	v_cvt_f64_u32_e32 v[17:18], s7
	v_cvt_f64_u32_e32 v[19:20], s5
	s_mov_b32 s5, s7
	s_cmp_lg_u32 s15, s7
	v_mul_f64 v[17:18], v[17:18], v[19:20]
	v_mul_f64 v[17:18], v[17:18], v[1:2]
	;; [unrolled: 1-line block ×3, first 2 shown]
	v_mul_f64 v[17:18], v[17:18], 4.0
	v_mul_f64 v[17:18], v[17:18], v[3:4]
	global_store_dwordx2 v[15:16], v[17:18], off
	v_add_co_u32_e32 v15, vcc, 8, v15
	v_addc_co_u32_e32 v16, vcc, 0, v16, vcc
	s_cbranch_scc1 .LBB0_8
; %bb.9:                                ;   in Loop: Header=BB0_4 Depth=1
	v_ashrrev_i32_e32 v8, 31, v7
	v_lshlrev_b64 v[15:16], 3, v[7:8]
	v_mov_b32_e32 v0, s3
	v_add_co_u32_e32 v15, vcc, s2, v15
	v_addc_co_u32_e32 v16, vcc, v0, v16, vcc
	s_mov_b32 s5, 0
.LBB0_10:                               ;   Parent Loop BB0_4 Depth=1
                                        ; =>  This Inner Loop Header: Depth=2
	s_add_i32 s7, s5, 1
	s_and_b32 s5, s5, 7
	s_lshl_b32 s5, 1, s5
	v_cvt_f64_u32_e32 v[17:18], s7
	v_cvt_f64_u32_e32 v[19:20], s5
	s_mov_b32 s5, s7
	s_cmp_lg_u32 s15, s7
	v_mul_f64 v[17:18], v[17:18], v[19:20]
	v_mul_f64 v[17:18], v[17:18], v[1:2]
	;; [unrolled: 1-line block ×3, first 2 shown]
	v_ldexp_f64 v[17:18], v[17:18], 3
	v_mul_f64 v[17:18], v[17:18], v[3:4]
	global_store_dwordx2 v[15:16], v[17:18], off
	v_add_co_u32_e32 v15, vcc, 8, v15
	v_addc_co_u32_e32 v16, vcc, 0, v16, vcc
	s_cbranch_scc1 .LBB0_10
; %bb.11:                               ;   in Loop: Header=BB0_4 Depth=1
	v_ashrrev_i32_e32 v10, 31, v9
	v_lshlrev_b64 v[15:16], 3, v[9:10]
	v_mov_b32_e32 v0, s3
	v_add_co_u32_e32 v15, vcc, s2, v15
	v_addc_co_u32_e32 v16, vcc, v0, v16, vcc
	s_mov_b32 s5, 0
.LBB0_12:                               ;   Parent Loop BB0_4 Depth=1
                                        ; =>  This Inner Loop Header: Depth=2
	s_add_i32 s7, s5, 1
	s_and_b32 s5, s5, 7
	s_lshl_b32 s5, 1, s5
	v_cvt_f64_u32_e32 v[17:18], s7
	v_cvt_f64_u32_e32 v[19:20], s5
	s_mov_b32 s5, s7
	s_cmp_lg_u32 s15, s7
	v_mul_f64 v[17:18], v[17:18], v[19:20]
	v_mul_f64 v[17:18], v[17:18], v[1:2]
	;; [unrolled: 1-line block ×4, first 2 shown]
	global_store_dwordx2 v[15:16], v[17:18], off
	v_add_co_u32_e32 v15, vcc, 8, v15
	v_addc_co_u32_e32 v16, vcc, 0, v16, vcc
	s_cbranch_scc1 .LBB0_12
	s_branch .LBB0_3
.LBB0_13:
	s_endpgm
	.section	.rodata,"a",@progbits
	.p2align	6, 0x0
	.amdhsa_kernel _Z11init_facexyiiiiiiiiPd
		.amdhsa_group_segment_fixed_size 0
		.amdhsa_private_segment_fixed_size 0
		.amdhsa_kernarg_size 296
		.amdhsa_user_sgpr_count 6
		.amdhsa_user_sgpr_private_segment_buffer 1
		.amdhsa_user_sgpr_dispatch_ptr 0
		.amdhsa_user_sgpr_queue_ptr 0
		.amdhsa_user_sgpr_kernarg_segment_ptr 1
		.amdhsa_user_sgpr_dispatch_id 0
		.amdhsa_user_sgpr_flat_scratch_init 0
		.amdhsa_user_sgpr_private_segment_size 0
		.amdhsa_uses_dynamic_stack 0
		.amdhsa_system_sgpr_private_segment_wavefront_offset 0
		.amdhsa_system_sgpr_workgroup_id_x 1
		.amdhsa_system_sgpr_workgroup_id_y 1
		.amdhsa_system_sgpr_workgroup_id_z 1
		.amdhsa_system_sgpr_workgroup_info 0
		.amdhsa_system_vgpr_workitem_id 2
		.amdhsa_next_free_vgpr 21
		.amdhsa_next_free_sgpr 16
		.amdhsa_reserve_vcc 1
		.amdhsa_reserve_flat_scratch 0
		.amdhsa_float_round_mode_32 0
		.amdhsa_float_round_mode_16_64 0
		.amdhsa_float_denorm_mode_32 3
		.amdhsa_float_denorm_mode_16_64 3
		.amdhsa_dx10_clamp 1
		.amdhsa_ieee_mode 1
		.amdhsa_fp16_overflow 0
		.amdhsa_exception_fp_ieee_invalid_op 0
		.amdhsa_exception_fp_denorm_src 0
		.amdhsa_exception_fp_ieee_div_zero 0
		.amdhsa_exception_fp_ieee_overflow 0
		.amdhsa_exception_fp_ieee_underflow 0
		.amdhsa_exception_fp_ieee_inexact 0
		.amdhsa_exception_int_div_zero 0
	.end_amdhsa_kernel
	.text
.Lfunc_end0:
	.size	_Z11init_facexyiiiiiiiiPd, .Lfunc_end0-_Z11init_facexyiiiiiiiiPd
                                        ; -- End function
	.set _Z11init_facexyiiiiiiiiPd.num_vgpr, 21
	.set _Z11init_facexyiiiiiiiiPd.num_agpr, 0
	.set _Z11init_facexyiiiiiiiiPd.numbered_sgpr, 16
	.set _Z11init_facexyiiiiiiiiPd.num_named_barrier, 0
	.set _Z11init_facexyiiiiiiiiPd.private_seg_size, 0
	.set _Z11init_facexyiiiiiiiiPd.uses_vcc, 1
	.set _Z11init_facexyiiiiiiiiPd.uses_flat_scratch, 0
	.set _Z11init_facexyiiiiiiiiPd.has_dyn_sized_stack, 0
	.set _Z11init_facexyiiiiiiiiPd.has_recursion, 0
	.set _Z11init_facexyiiiiiiiiPd.has_indirect_call, 0
	.section	.AMDGPU.csdata,"",@progbits
; Kernel info:
; codeLenInByte = 908
; TotalNumSgprs: 20
; NumVgprs: 21
; ScratchSize: 0
; MemoryBound: 0
; FloatMode: 240
; IeeeMode: 1
; LDSByteSize: 0 bytes/workgroup (compile time only)
; SGPRBlocks: 2
; VGPRBlocks: 5
; NumSGPRsForWavesPerEU: 20
; NumVGPRsForWavesPerEU: 21
; Occupancy: 10
; WaveLimiterHint : 0
; COMPUTE_PGM_RSRC2:SCRATCH_EN: 0
; COMPUTE_PGM_RSRC2:USER_SGPR: 6
; COMPUTE_PGM_RSRC2:TRAP_HANDLER: 0
; COMPUTE_PGM_RSRC2:TGID_X_EN: 1
; COMPUTE_PGM_RSRC2:TGID_Y_EN: 1
; COMPUTE_PGM_RSRC2:TGID_Z_EN: 1
; COMPUTE_PGM_RSRC2:TIDIG_COMP_CNT: 2
	.text
	.protected	_Z11init_facexziiiiiiiii11StepInfoAllPd ; -- Begin function _Z11init_facexziiiiiiiii11StepInfoAllPd
	.globl	_Z11init_facexziiiiiiiii11StepInfoAllPd
	.p2align	8
	.type	_Z11init_facexziiiiiiiii11StepInfoAllPd,@function
_Z11init_facexziiiiiiiii11StepInfoAllPd: ; @_Z11init_facexziiiiiiiii11StepInfoAllPd
; %bb.0:
	s_load_dword s0, s[4:5], 0x9c
	s_load_dwordx8 s[12:19], s[4:5], 0x0
	s_waitcnt lgkmcnt(0)
	s_and_b32 s1, s0, 0xffff
	s_mul_i32 s6, s6, s1
	v_add_u32_e32 v5, s6, v0
	v_cmp_gt_i32_e32 vcc, s16, v5
	s_and_saveexec_b64 s[2:3], vcc
	s_cbranch_execz .LBB1_21
; %bb.1:
	s_load_dword s1, s[4:5], 0xa0
	s_load_dword s9, s[4:5], 0x20
	s_lshr_b32 s0, s0, 16
	s_mul_i32 s7, s7, s0
	v_add_u32_e32 v3, s7, v1
	s_waitcnt lgkmcnt(0)
	s_and_b32 s0, s1, 0xffff
	s_and_b32 s0, s0, 0xffff
	s_mul_i32 s8, s8, s0
	v_add_u32_e32 v4, s8, v2
	v_cmp_gt_i32_e32 vcc, s18, v3
	v_cmp_gt_i32_e64 s[0:1], 8, v4
	s_and_b64 s[0:1], vcc, s[0:1]
	s_cmp_gt_i32 s14, 0
	s_cselect_b64 s[2:3], -1, 0
	s_mov_b32 s8, 0
	s_and_b64 s[0:1], s[0:1], s[2:3]
	s_and_b64 exec, exec, s[0:1]
	s_cbranch_execz .LBB1_21
; %bb.2:
	v_mad_i64_i32 v[1:2], s[0:1], v4, 12, s[4:5]
	s_cmp_gt_i32 s15, 0
	s_cselect_b64 s[10:11], -1, 0
	v_add_co_u32_e64 v1, s[0:1], 36, v1
	v_and_b32_e32 v6, 2, v4
	v_addc_co_u32_e64 v2, s[0:1], 0, v2, s[0:1]
	s_cmp_lg_u32 s19, 0
	v_mov_b32_e32 v7, s17
	v_cmp_eq_u32_e32 vcc, 0, v6
	s_cselect_b64 s[0:1], -1, 0
	s_load_dwordx2 s[2:3], s[4:5], 0x88
	v_cndmask_b32_e64 v7, v7, 3, vcc
	v_add_u32_e32 v10, s12, v5
	s_and_b64 s[0:1], s[0:1], vcc
	v_cmp_ne_u32_e32 vcc, 0, v6
	v_mad_u64_u32 v[5:6], s[4:5], v4, s18, v[3:4]
	s_mul_i32 s7, s15, s14
	v_add3_u32 v3, v3, s13, v7
	v_mul_lo_u32 v5, s16, v5
	v_add_u32_e32 v4, 1, v4
	s_cmp_lg_u32 s9, 0
	s_cselect_b64 s[4:5], -1, 0
	v_add3_u32 v0, v0, v5, s6
	v_mul_lo_u32 v6, s7, v0
	v_mul_lo_u32 v7, s14, v0
	v_cvt_f64_i32_e32 v[4:5], v4
	s_and_b64 s[4:5], s[4:5], vcc
	v_lshlrev_b32_e32 v0, 2, v6
	v_lshlrev_b32_e32 v6, 2, v7
	v_mul_lo_u32 v7, s15, v6
	v_or_b32_e32 v8, 2, v6
	v_or_b32_e32 v6, 3, v6
	v_mul_lo_u32 v11, s15, v8
	v_mul_lo_u32 v12, s15, v6
	v_cndmask_b32_e64 v6, 0, 1, s[10:11]
	s_or_b64 s[4:5], s[0:1], s[4:5]
	s_lshl_b32 s9, s15, 2
	v_add_u32_e32 v13, s15, v7
	v_cmp_ne_u32_e64 s[0:1], 1, v6
	s_branch .LBB1_4
.LBB1_3:                                ;   in Loop: Header=BB1_4 Depth=1
	s_add_i32 s8, s8, 1
	v_add_u32_e32 v0, s9, v0
	v_add_u32_e32 v13, s9, v13
	;; [unrolled: 1-line block ×3, first 2 shown]
	s_cmp_eq_u32 s8, s14
	v_add_u32_e32 v12, s9, v12
	s_cbranch_scc1 .LBB1_21
.LBB1_4:                                ; =>This Loop Header: Depth=1
                                        ;     Child Loop BB1_7 Depth 2
                                        ;     Child Loop BB1_11 Depth 2
	;; [unrolled: 1-line block ×4, first 2 shown]
	s_and_b64 vcc, exec, s[0:1]
	s_cbranch_vccnz .LBB1_3
; %bb.5:                                ;   in Loop: Header=BB1_4 Depth=1
	global_load_dword v6, v[1:2], off
	s_mul_i32 s6, s8, 0x556
	s_add_i32 s6, s6, 0x24d69
	s_mul_hi_u32 s7, s6, 0x77f2655b
	s_sub_i32 s10, s6, s7
	s_lshr_b32 s10, s10, 1
	s_add_i32 s10, s10, s7
	s_lshr_b32 s7, s10, 19
	s_mul_i32 s7, s7, 0xae529
	s_sub_i32 s10, s6, s7
	s_mov_b32 s11, 0
	s_waitcnt vmcnt(0)
	v_mad_u64_u32 v[8:9], s[6:7], v6, s18, v[3:4]
	s_and_b32 s6, s10, 3
	s_lshl_b32 s6, 1, s6
	v_sub_u32_e32 v8, v10, v8
	v_and_b32_e32 v8, 3, v8
	v_xor_b32_e32 v8, 2, v8
	v_lshlrev_b32_e64 v8, v8, 1
	v_cvt_f64_u32_e32 v[6:7], s6
	v_cvt_f64_u32_e32 v[8:9], v8
	s_branch .LBB1_7
.LBB1_6:                                ;   in Loop: Header=BB1_7 Depth=2
	s_or_b64 exec, exec, s[6:7]
	s_cmp_eq_u32 s15, s10
	s_mov_b32 s11, s10
	s_cbranch_scc1 .LBB1_9
.LBB1_7:                                ;   Parent Loop BB1_4 Depth=1
                                        ; =>  This Inner Loop Header: Depth=2
	s_add_i32 s10, s11, 1
	s_and_saveexec_b64 s[6:7], s[4:5]
	s_cbranch_execz .LBB1_6
; %bb.8:                                ;   in Loop: Header=BB1_7 Depth=2
	s_and_b32 s12, s11, 7
	s_lshl_b32 s12, 1, s12
	v_cvt_f64_u32_e32 v[14:15], s10
	v_cvt_f64_u32_e32 v[16:17], s12
	s_waitcnt lgkmcnt(0)
	v_mov_b32_e32 v18, s3
	v_mul_f64 v[14:15], v[14:15], v[16:17]
	v_add_u32_e32 v16, s11, v0
	v_ashrrev_i32_e32 v17, 31, v16
	v_lshlrev_b64 v[16:17], 3, v[16:17]
	v_add_co_u32_e32 v16, vcc, s2, v16
	v_addc_co_u32_e32 v17, vcc, v18, v17, vcc
	v_mul_f64 v[14:15], v[14:15], v[8:9]
	v_mul_f64 v[14:15], v[14:15], v[6:7]
	v_add_f64 v[14:15], v[14:15], v[14:15]
	v_mul_f64 v[14:15], v[14:15], v[4:5]
	global_store_dwordx2 v[16:17], v[14:15], off
	s_branch .LBB1_6
.LBB1_9:                                ;   in Loop: Header=BB1_4 Depth=1
	s_mov_b32 s11, 0
	s_branch .LBB1_11
.LBB1_10:                               ;   in Loop: Header=BB1_11 Depth=2
	s_or_b64 exec, exec, s[6:7]
	s_cmp_lg_u32 s15, s10
	s_mov_b32 s11, s10
	s_cbranch_scc0 .LBB1_13
.LBB1_11:                               ;   Parent Loop BB1_4 Depth=1
                                        ; =>  This Inner Loop Header: Depth=2
	s_add_i32 s10, s11, 1
	s_and_saveexec_b64 s[6:7], s[4:5]
	s_cbranch_execz .LBB1_10
; %bb.12:                               ;   in Loop: Header=BB1_11 Depth=2
	s_and_b32 s12, s11, 7
	s_lshl_b32 s12, 1, s12
	v_cvt_f64_u32_e32 v[14:15], s10
	v_cvt_f64_u32_e32 v[16:17], s12
	s_waitcnt lgkmcnt(0)
	v_mov_b32_e32 v18, s3
	v_mul_f64 v[14:15], v[14:15], v[16:17]
	v_add_u32_e32 v16, s11, v13
	v_ashrrev_i32_e32 v17, 31, v16
	v_lshlrev_b64 v[16:17], 3, v[16:17]
	v_add_co_u32_e32 v16, vcc, s2, v16
	v_addc_co_u32_e32 v17, vcc, v18, v17, vcc
	v_mul_f64 v[14:15], v[14:15], v[8:9]
	v_mul_f64 v[14:15], v[14:15], v[6:7]
	v_mul_f64 v[14:15], v[14:15], 4.0
	v_mul_f64 v[14:15], v[14:15], v[4:5]
	global_store_dwordx2 v[16:17], v[14:15], off
	s_branch .LBB1_10
.LBB1_13:                               ;   in Loop: Header=BB1_4 Depth=1
	s_mov_b32 s11, 0
	s_branch .LBB1_15
.LBB1_14:                               ;   in Loop: Header=BB1_15 Depth=2
	s_or_b64 exec, exec, s[6:7]
	s_cmp_lg_u32 s15, s10
	s_mov_b32 s11, s10
	s_cbranch_scc0 .LBB1_17
.LBB1_15:                               ;   Parent Loop BB1_4 Depth=1
                                        ; =>  This Inner Loop Header: Depth=2
	s_add_i32 s10, s11, 1
	s_and_saveexec_b64 s[6:7], s[4:5]
	s_cbranch_execz .LBB1_14
; %bb.16:                               ;   in Loop: Header=BB1_15 Depth=2
	s_and_b32 s12, s11, 7
	s_lshl_b32 s12, 1, s12
	v_cvt_f64_u32_e32 v[14:15], s10
	v_cvt_f64_u32_e32 v[16:17], s12
	s_waitcnt lgkmcnt(0)
	v_mov_b32_e32 v18, s3
	v_mul_f64 v[14:15], v[14:15], v[16:17]
	v_add_u32_e32 v16, s11, v11
	v_ashrrev_i32_e32 v17, 31, v16
	v_lshlrev_b64 v[16:17], 3, v[16:17]
	v_add_co_u32_e32 v16, vcc, s2, v16
	v_addc_co_u32_e32 v17, vcc, v18, v17, vcc
	v_mul_f64 v[14:15], v[14:15], v[8:9]
	v_mul_f64 v[14:15], v[14:15], v[6:7]
	v_ldexp_f64 v[14:15], v[14:15], 3
	v_mul_f64 v[14:15], v[14:15], v[4:5]
	global_store_dwordx2 v[16:17], v[14:15], off
	s_branch .LBB1_14
.LBB1_17:                               ;   in Loop: Header=BB1_4 Depth=1
	s_mov_b32 s11, 0
	s_branch .LBB1_19
.LBB1_18:                               ;   in Loop: Header=BB1_19 Depth=2
	s_or_b64 exec, exec, s[6:7]
	s_cmp_lg_u32 s15, s10
	s_mov_b32 s11, s10
	s_cbranch_scc0 .LBB1_3
.LBB1_19:                               ;   Parent Loop BB1_4 Depth=1
                                        ; =>  This Inner Loop Header: Depth=2
	s_add_i32 s10, s11, 1
	s_and_saveexec_b64 s[6:7], s[4:5]
	s_cbranch_execz .LBB1_18
; %bb.20:                               ;   in Loop: Header=BB1_19 Depth=2
	s_and_b32 s12, s11, 7
	s_lshl_b32 s12, 1, s12
	v_cvt_f64_u32_e32 v[14:15], s10
	v_cvt_f64_u32_e32 v[16:17], s12
	s_waitcnt lgkmcnt(0)
	v_mov_b32_e32 v18, s3
	v_mul_f64 v[14:15], v[14:15], v[16:17]
	v_add_u32_e32 v16, s11, v12
	v_ashrrev_i32_e32 v17, 31, v16
	v_lshlrev_b64 v[16:17], 3, v[16:17]
	v_add_co_u32_e32 v16, vcc, s2, v16
	v_addc_co_u32_e32 v17, vcc, v18, v17, vcc
	v_mul_f64 v[14:15], v[14:15], v[8:9]
	v_mul_f64 v[14:15], v[14:15], v[6:7]
	;; [unrolled: 1-line block ×3, first 2 shown]
	global_store_dwordx2 v[16:17], v[14:15], off
	s_branch .LBB1_18
.LBB1_21:
	s_endpgm
	.section	.rodata,"a",@progbits
	.p2align	6, 0x0
	.amdhsa_kernel _Z11init_facexziiiiiiiii11StepInfoAllPd
		.amdhsa_group_segment_fixed_size 0
		.amdhsa_private_segment_fixed_size 0
		.amdhsa_kernarg_size 400
		.amdhsa_user_sgpr_count 6
		.amdhsa_user_sgpr_private_segment_buffer 1
		.amdhsa_user_sgpr_dispatch_ptr 0
		.amdhsa_user_sgpr_queue_ptr 0
		.amdhsa_user_sgpr_kernarg_segment_ptr 1
		.amdhsa_user_sgpr_dispatch_id 0
		.amdhsa_user_sgpr_flat_scratch_init 0
		.amdhsa_user_sgpr_private_segment_size 0
		.amdhsa_uses_dynamic_stack 0
		.amdhsa_system_sgpr_private_segment_wavefront_offset 0
		.amdhsa_system_sgpr_workgroup_id_x 1
		.amdhsa_system_sgpr_workgroup_id_y 1
		.amdhsa_system_sgpr_workgroup_id_z 1
		.amdhsa_system_sgpr_workgroup_info 0
		.amdhsa_system_vgpr_workitem_id 2
		.amdhsa_next_free_vgpr 19
		.amdhsa_next_free_sgpr 20
		.amdhsa_reserve_vcc 1
		.amdhsa_reserve_flat_scratch 0
		.amdhsa_float_round_mode_32 0
		.amdhsa_float_round_mode_16_64 0
		.amdhsa_float_denorm_mode_32 3
		.amdhsa_float_denorm_mode_16_64 3
		.amdhsa_dx10_clamp 1
		.amdhsa_ieee_mode 1
		.amdhsa_fp16_overflow 0
		.amdhsa_exception_fp_ieee_invalid_op 0
		.amdhsa_exception_fp_denorm_src 0
		.amdhsa_exception_fp_ieee_div_zero 0
		.amdhsa_exception_fp_ieee_overflow 0
		.amdhsa_exception_fp_ieee_underflow 0
		.amdhsa_exception_fp_ieee_inexact 0
		.amdhsa_exception_int_div_zero 0
	.end_amdhsa_kernel
	.text
.Lfunc_end1:
	.size	_Z11init_facexziiiiiiiii11StepInfoAllPd, .Lfunc_end1-_Z11init_facexziiiiiiiii11StepInfoAllPd
                                        ; -- End function
	.set _Z11init_facexziiiiiiiii11StepInfoAllPd.num_vgpr, 19
	.set _Z11init_facexziiiiiiiii11StepInfoAllPd.num_agpr, 0
	.set _Z11init_facexziiiiiiiii11StepInfoAllPd.numbered_sgpr, 20
	.set _Z11init_facexziiiiiiiii11StepInfoAllPd.num_named_barrier, 0
	.set _Z11init_facexziiiiiiiii11StepInfoAllPd.private_seg_size, 0
	.set _Z11init_facexziiiiiiiii11StepInfoAllPd.uses_vcc, 1
	.set _Z11init_facexziiiiiiiii11StepInfoAllPd.uses_flat_scratch, 0
	.set _Z11init_facexziiiiiiiii11StepInfoAllPd.has_dyn_sized_stack, 0
	.set _Z11init_facexziiiiiiiii11StepInfoAllPd.has_recursion, 0
	.set _Z11init_facexziiiiiiiii11StepInfoAllPd.has_indirect_call, 0
	.section	.AMDGPU.csdata,"",@progbits
; Kernel info:
; codeLenInByte = 1052
; TotalNumSgprs: 24
; NumVgprs: 19
; ScratchSize: 0
; MemoryBound: 0
; FloatMode: 240
; IeeeMode: 1
; LDSByteSize: 0 bytes/workgroup (compile time only)
; SGPRBlocks: 2
; VGPRBlocks: 4
; NumSGPRsForWavesPerEU: 24
; NumVGPRsForWavesPerEU: 19
; Occupancy: 10
; WaveLimiterHint : 0
; COMPUTE_PGM_RSRC2:SCRATCH_EN: 0
; COMPUTE_PGM_RSRC2:USER_SGPR: 6
; COMPUTE_PGM_RSRC2:TRAP_HANDLER: 0
; COMPUTE_PGM_RSRC2:TGID_X_EN: 1
; COMPUTE_PGM_RSRC2:TGID_Y_EN: 1
; COMPUTE_PGM_RSRC2:TGID_Z_EN: 1
; COMPUTE_PGM_RSRC2:TIDIG_COMP_CNT: 2
	.text
	.protected	_Z11init_faceyziiiiiiiii11StepInfoAllPd ; -- Begin function _Z11init_faceyziiiiiiiii11StepInfoAllPd
	.globl	_Z11init_faceyziiiiiiiii11StepInfoAllPd
	.p2align	8
	.type	_Z11init_faceyziiiiiiiii11StepInfoAllPd,@function
_Z11init_faceyziiiiiiiii11StepInfoAllPd: ; @_Z11init_faceyziiiiiiiii11StepInfoAllPd
; %bb.0:
	s_load_dword s0, s[4:5], 0x9c
	s_load_dwordx8 s[12:19], s[4:5], 0x0
	s_waitcnt lgkmcnt(0)
	s_and_b32 s1, s0, 0xffff
	s_mul_i32 s2, s6, s1
	v_add_u32_e32 v4, s2, v0
	v_cmp_gt_i32_e32 vcc, s17, v4
	s_and_saveexec_b64 s[10:11], vcc
	s_cbranch_execz .LBB2_21
; %bb.1:
	s_load_dword s1, s[4:5], 0xa0
	s_load_dword s3, s[4:5], 0x20
	s_lshr_b32 s0, s0, 16
	s_mul_i32 s7, s7, s0
	v_add_u32_e32 v3, s7, v1
	s_waitcnt lgkmcnt(0)
	s_and_b32 s0, s1, 0xffff
	s_and_b32 s0, s0, 0xffff
	s_mul_i32 s8, s8, s0
	v_add_u32_e32 v5, s8, v2
	v_cmp_gt_i32_e32 vcc, s18, v3
	v_cmp_gt_i32_e64 s[0:1], 8, v5
	s_and_b64 s[0:1], vcc, s[0:1]
	s_cmp_gt_i32 s14, 0
	s_cselect_b64 s[6:7], -1, 0
	s_mov_b32 s8, 0
	s_and_b64 s[0:1], s[0:1], s[6:7]
	s_and_b64 exec, exec, s[0:1]
	s_cbranch_execz .LBB2_21
; %bb.2:
	v_mad_i64_i32 v[1:2], s[0:1], v5, 12, s[4:5]
	v_and_b32_e32 v6, 1, v5
	v_mov_b32_e32 v7, s16
	v_cmp_eq_u32_e32 vcc, 0, v6
	v_cndmask_b32_e64 v6, v7, 3, vcc
	v_add_co_u32_e64 v1, s[0:1], 36, v1
	v_add_u32_e32 v10, s12, v6
	v_addc_co_u32_e64 v2, s[0:1], 0, v2, s[0:1]
	v_mad_u64_u32 v[6:7], s[0:1], v5, s18, v[3:4]
	v_mov_b32_e32 v7, s3
	v_mov_b32_e32 v8, s19
	v_mul_lo_u32 v6, s17, v6
	v_cndmask_b32_e32 v7, v7, v8, vcc
	s_mul_i32 s3, s15, s14
	v_cmp_ne_u32_e64 s[0:1], 0, v7
	v_add3_u32 v0, v0, v6, s2
	v_mul_lo_u32 v6, s3, v0
	v_mul_lo_u32 v7, s14, v0
	s_load_dwordx2 s[6:7], s[4:5], 0x88
	v_add3_u32 v3, v4, s13, v3
	v_lshlrev_b32_e32 v0, 2, v6
	v_lshlrev_b32_e32 v6, 2, v7
	v_add_u32_e32 v4, 1, v5
	v_mul_lo_u32 v7, s15, v6
	v_or_b32_e32 v8, 2, v6
	v_or_b32_e32 v6, 3, v6
	s_cmp_gt_i32 s15, 0
	v_cvt_f64_i32_e32 v[4:5], v4
	v_mul_lo_u32 v11, s15, v8
	v_mul_lo_u32 v12, s15, v6
	s_cselect_b64 s[10:11], -1, 0
	v_cndmask_b32_e64 v6, 0, 1, s[10:11]
	s_lshl_b32 s9, s15, 2
	v_add_u32_e32 v13, s15, v7
	v_cmp_ne_u32_e64 s[2:3], 1, v6
	s_branch .LBB2_4
.LBB2_3:                                ;   in Loop: Header=BB2_4 Depth=1
	s_add_i32 s8, s8, 1
	v_add_u32_e32 v0, s9, v0
	v_add_u32_e32 v13, s9, v13
	;; [unrolled: 1-line block ×3, first 2 shown]
	s_cmp_eq_u32 s8, s14
	v_add_u32_e32 v12, s9, v12
	s_cbranch_scc1 .LBB2_21
.LBB2_4:                                ; =>This Loop Header: Depth=1
                                        ;     Child Loop BB2_7 Depth 2
                                        ;     Child Loop BB2_11 Depth 2
	;; [unrolled: 1-line block ×4, first 2 shown]
	s_and_b64 vcc, exec, s[2:3]
	s_cbranch_vccnz .LBB2_3
; %bb.5:                                ;   in Loop: Header=BB2_4 Depth=1
	global_load_dword v6, v[1:2], off
	s_mul_i32 s4, s8, 0x556
	s_add_i32 s4, s4, 0x24d69
	s_mul_hi_u32 s5, s4, 0x77f2655b
	s_sub_i32 s10, s4, s5
	s_lshr_b32 s10, s10, 1
	s_add_i32 s10, s10, s5
	s_lshr_b32 s5, s10, 19
	s_mul_i32 s5, s5, 0xae529
	s_sub_i32 s10, s4, s5
	s_mov_b32 s11, 0
	s_waitcnt vmcnt(0)
	v_mad_u64_u32 v[8:9], s[4:5], v6, s18, v[3:4]
	s_and_b32 s4, s10, 3
	s_lshl_b32 s4, 1, s4
	v_sub_u32_e32 v8, v10, v8
	v_and_b32_e32 v8, 3, v8
	v_xor_b32_e32 v8, 2, v8
	v_lshlrev_b32_e64 v8, v8, 1
	v_cvt_f64_u32_e32 v[6:7], s4
	v_cvt_f64_u32_e32 v[8:9], v8
	s_branch .LBB2_7
.LBB2_6:                                ;   in Loop: Header=BB2_7 Depth=2
	s_or_b64 exec, exec, s[4:5]
	s_cmp_eq_u32 s15, s10
	s_mov_b32 s11, s10
	s_cbranch_scc1 .LBB2_9
.LBB2_7:                                ;   Parent Loop BB2_4 Depth=1
                                        ; =>  This Inner Loop Header: Depth=2
	s_add_i32 s10, s11, 1
	s_and_saveexec_b64 s[4:5], s[0:1]
	s_cbranch_execz .LBB2_6
; %bb.8:                                ;   in Loop: Header=BB2_7 Depth=2
	s_and_b32 s12, s11, 7
	s_lshl_b32 s12, 1, s12
	v_cvt_f64_u32_e32 v[14:15], s10
	v_cvt_f64_u32_e32 v[16:17], s12
	s_waitcnt lgkmcnt(0)
	v_mov_b32_e32 v18, s7
	v_mul_f64 v[14:15], v[14:15], v[16:17]
	v_add_u32_e32 v16, s11, v0
	v_ashrrev_i32_e32 v17, 31, v16
	v_lshlrev_b64 v[16:17], 3, v[16:17]
	v_add_co_u32_e32 v16, vcc, s6, v16
	v_addc_co_u32_e32 v17, vcc, v18, v17, vcc
	v_mul_f64 v[14:15], v[14:15], v[8:9]
	v_mul_f64 v[14:15], v[14:15], v[6:7]
	v_add_f64 v[14:15], v[14:15], v[14:15]
	v_mul_f64 v[14:15], v[14:15], v[4:5]
	global_store_dwordx2 v[16:17], v[14:15], off
	s_branch .LBB2_6
.LBB2_9:                                ;   in Loop: Header=BB2_4 Depth=1
	s_mov_b32 s11, 0
	s_branch .LBB2_11
.LBB2_10:                               ;   in Loop: Header=BB2_11 Depth=2
	s_or_b64 exec, exec, s[4:5]
	s_cmp_lg_u32 s15, s10
	s_mov_b32 s11, s10
	s_cbranch_scc0 .LBB2_13
.LBB2_11:                               ;   Parent Loop BB2_4 Depth=1
                                        ; =>  This Inner Loop Header: Depth=2
	s_add_i32 s10, s11, 1
	s_and_saveexec_b64 s[4:5], s[0:1]
	s_cbranch_execz .LBB2_10
; %bb.12:                               ;   in Loop: Header=BB2_11 Depth=2
	s_and_b32 s12, s11, 7
	s_lshl_b32 s12, 1, s12
	v_cvt_f64_u32_e32 v[14:15], s10
	v_cvt_f64_u32_e32 v[16:17], s12
	s_waitcnt lgkmcnt(0)
	v_mov_b32_e32 v18, s7
	v_mul_f64 v[14:15], v[14:15], v[16:17]
	v_add_u32_e32 v16, s11, v13
	v_ashrrev_i32_e32 v17, 31, v16
	v_lshlrev_b64 v[16:17], 3, v[16:17]
	v_add_co_u32_e32 v16, vcc, s6, v16
	v_addc_co_u32_e32 v17, vcc, v18, v17, vcc
	v_mul_f64 v[14:15], v[14:15], v[8:9]
	v_mul_f64 v[14:15], v[14:15], v[6:7]
	v_mul_f64 v[14:15], v[14:15], 4.0
	v_mul_f64 v[14:15], v[14:15], v[4:5]
	global_store_dwordx2 v[16:17], v[14:15], off
	s_branch .LBB2_10
.LBB2_13:                               ;   in Loop: Header=BB2_4 Depth=1
	s_mov_b32 s11, 0
	s_branch .LBB2_15
.LBB2_14:                               ;   in Loop: Header=BB2_15 Depth=2
	s_or_b64 exec, exec, s[4:5]
	s_cmp_lg_u32 s15, s10
	s_mov_b32 s11, s10
	s_cbranch_scc0 .LBB2_17
.LBB2_15:                               ;   Parent Loop BB2_4 Depth=1
                                        ; =>  This Inner Loop Header: Depth=2
	s_add_i32 s10, s11, 1
	s_and_saveexec_b64 s[4:5], s[0:1]
	s_cbranch_execz .LBB2_14
; %bb.16:                               ;   in Loop: Header=BB2_15 Depth=2
	s_and_b32 s12, s11, 7
	s_lshl_b32 s12, 1, s12
	v_cvt_f64_u32_e32 v[14:15], s10
	v_cvt_f64_u32_e32 v[16:17], s12
	s_waitcnt lgkmcnt(0)
	v_mov_b32_e32 v18, s7
	v_mul_f64 v[14:15], v[14:15], v[16:17]
	v_add_u32_e32 v16, s11, v11
	v_ashrrev_i32_e32 v17, 31, v16
	v_lshlrev_b64 v[16:17], 3, v[16:17]
	v_add_co_u32_e32 v16, vcc, s6, v16
	v_addc_co_u32_e32 v17, vcc, v18, v17, vcc
	v_mul_f64 v[14:15], v[14:15], v[8:9]
	v_mul_f64 v[14:15], v[14:15], v[6:7]
	v_ldexp_f64 v[14:15], v[14:15], 3
	v_mul_f64 v[14:15], v[14:15], v[4:5]
	global_store_dwordx2 v[16:17], v[14:15], off
	s_branch .LBB2_14
.LBB2_17:                               ;   in Loop: Header=BB2_4 Depth=1
	s_mov_b32 s11, 0
	s_branch .LBB2_19
.LBB2_18:                               ;   in Loop: Header=BB2_19 Depth=2
	s_or_b64 exec, exec, s[4:5]
	s_cmp_lg_u32 s15, s10
	s_mov_b32 s11, s10
	s_cbranch_scc0 .LBB2_3
.LBB2_19:                               ;   Parent Loop BB2_4 Depth=1
                                        ; =>  This Inner Loop Header: Depth=2
	s_add_i32 s10, s11, 1
	s_and_saveexec_b64 s[4:5], s[0:1]
	s_cbranch_execz .LBB2_18
; %bb.20:                               ;   in Loop: Header=BB2_19 Depth=2
	s_and_b32 s12, s11, 7
	s_lshl_b32 s12, 1, s12
	v_cvt_f64_u32_e32 v[14:15], s10
	v_cvt_f64_u32_e32 v[16:17], s12
	s_waitcnt lgkmcnt(0)
	v_mov_b32_e32 v18, s7
	v_mul_f64 v[14:15], v[14:15], v[16:17]
	v_add_u32_e32 v16, s11, v12
	v_ashrrev_i32_e32 v17, 31, v16
	v_lshlrev_b64 v[16:17], 3, v[16:17]
	v_add_co_u32_e32 v16, vcc, s6, v16
	v_addc_co_u32_e32 v17, vcc, v18, v17, vcc
	v_mul_f64 v[14:15], v[14:15], v[8:9]
	v_mul_f64 v[14:15], v[14:15], v[6:7]
	;; [unrolled: 1-line block ×3, first 2 shown]
	global_store_dwordx2 v[16:17], v[14:15], off
	s_branch .LBB2_18
.LBB2_21:
	s_endpgm
	.section	.rodata,"a",@progbits
	.p2align	6, 0x0
	.amdhsa_kernel _Z11init_faceyziiiiiiiii11StepInfoAllPd
		.amdhsa_group_segment_fixed_size 0
		.amdhsa_private_segment_fixed_size 0
		.amdhsa_kernarg_size 400
		.amdhsa_user_sgpr_count 6
		.amdhsa_user_sgpr_private_segment_buffer 1
		.amdhsa_user_sgpr_dispatch_ptr 0
		.amdhsa_user_sgpr_queue_ptr 0
		.amdhsa_user_sgpr_kernarg_segment_ptr 1
		.amdhsa_user_sgpr_dispatch_id 0
		.amdhsa_user_sgpr_flat_scratch_init 0
		.amdhsa_user_sgpr_private_segment_size 0
		.amdhsa_uses_dynamic_stack 0
		.amdhsa_system_sgpr_private_segment_wavefront_offset 0
		.amdhsa_system_sgpr_workgroup_id_x 1
		.amdhsa_system_sgpr_workgroup_id_y 1
		.amdhsa_system_sgpr_workgroup_id_z 1
		.amdhsa_system_sgpr_workgroup_info 0
		.amdhsa_system_vgpr_workitem_id 2
		.amdhsa_next_free_vgpr 19
		.amdhsa_next_free_sgpr 20
		.amdhsa_reserve_vcc 1
		.amdhsa_reserve_flat_scratch 0
		.amdhsa_float_round_mode_32 0
		.amdhsa_float_round_mode_16_64 0
		.amdhsa_float_denorm_mode_32 3
		.amdhsa_float_denorm_mode_16_64 3
		.amdhsa_dx10_clamp 1
		.amdhsa_ieee_mode 1
		.amdhsa_fp16_overflow 0
		.amdhsa_exception_fp_ieee_invalid_op 0
		.amdhsa_exception_fp_denorm_src 0
		.amdhsa_exception_fp_ieee_div_zero 0
		.amdhsa_exception_fp_ieee_overflow 0
		.amdhsa_exception_fp_ieee_underflow 0
		.amdhsa_exception_fp_ieee_inexact 0
		.amdhsa_exception_int_div_zero 0
	.end_amdhsa_kernel
	.text
.Lfunc_end2:
	.size	_Z11init_faceyziiiiiiiii11StepInfoAllPd, .Lfunc_end2-_Z11init_faceyziiiiiiiii11StepInfoAllPd
                                        ; -- End function
	.set _Z11init_faceyziiiiiiiii11StepInfoAllPd.num_vgpr, 19
	.set _Z11init_faceyziiiiiiiii11StepInfoAllPd.num_agpr, 0
	.set _Z11init_faceyziiiiiiiii11StepInfoAllPd.numbered_sgpr, 20
	.set _Z11init_faceyziiiiiiiii11StepInfoAllPd.num_named_barrier, 0
	.set _Z11init_faceyziiiiiiiii11StepInfoAllPd.private_seg_size, 0
	.set _Z11init_faceyziiiiiiiii11StepInfoAllPd.uses_vcc, 1
	.set _Z11init_faceyziiiiiiiii11StepInfoAllPd.uses_flat_scratch, 0
	.set _Z11init_faceyziiiiiiiii11StepInfoAllPd.has_dyn_sized_stack, 0
	.set _Z11init_faceyziiiiiiiii11StepInfoAllPd.has_recursion, 0
	.set _Z11init_faceyziiiiiiiii11StepInfoAllPd.has_indirect_call, 0
	.section	.AMDGPU.csdata,"",@progbits
; Kernel info:
; codeLenInByte = 1040
; TotalNumSgprs: 24
; NumVgprs: 19
; ScratchSize: 0
; MemoryBound: 0
; FloatMode: 240
; IeeeMode: 1
; LDSByteSize: 0 bytes/workgroup (compile time only)
; SGPRBlocks: 2
; VGPRBlocks: 4
; NumSGPRsForWavesPerEU: 24
; NumVGPRsForWavesPerEU: 19
; Occupancy: 10
; WaveLimiterHint : 0
; COMPUTE_PGM_RSRC2:SCRATCH_EN: 0
; COMPUTE_PGM_RSRC2:USER_SGPR: 6
; COMPUTE_PGM_RSRC2:TRAP_HANDLER: 0
; COMPUTE_PGM_RSRC2:TGID_X_EN: 1
; COMPUTE_PGM_RSRC2:TGID_Y_EN: 1
; COMPUTE_PGM_RSRC2:TGID_Z_EN: 1
; COMPUTE_PGM_RSRC2:TIDIG_COMP_CNT: 2
	.text
	.protected	_Z10wavefrontsiiiii10Dimensions11StepInfoAllPdS1_S1_S1_S1_S1_S1_S1_ ; -- Begin function _Z10wavefrontsiiiii10Dimensions11StepInfoAllPdS1_S1_S1_S1_S1_S1_S1_
	.globl	_Z10wavefrontsiiiii10Dimensions11StepInfoAllPdS1_S1_S1_S1_S1_S1_S1_
	.p2align	8
	.type	_Z10wavefrontsiiiii10Dimensions11StepInfoAllPdS1_S1_S1_S1_S1_S1_S1_,@function
_Z10wavefrontsiiiii10Dimensions11StepInfoAllPdS1_S1_S1_S1_S1_S1_S1_: ; @_Z10wavefrontsiiiii10Dimensions11StepInfoAllPdS1_S1_S1_S1_S1_S1_S1_
; %bb.0:
	s_load_dword s0, s[4:5], 0xdc
	s_load_dwordx4 s[36:39], s[4:5], 0x0
	s_load_dwordx4 s[40:43], s[4:5], 0x14
	s_mov_b32 s34, 0
	s_waitcnt lgkmcnt(0)
	s_lshr_b32 s1, s0, 16
	s_and_b32 s0, s0, 0xffff
	s_mul_i32 s6, s6, s0
	s_mul_i32 s7, s7, s1
	v_add_u32_e32 v0, s6, v0
	v_add_u32_e32 v4, s7, v1
	v_cmp_gt_i32_e32 vcc, s43, v4
	v_cmp_gt_i32_e64 s[0:1], 8, v0
	s_and_b64 s[0:1], s[0:1], vcc
	s_cmp_gt_i32 s36, 0
	s_cselect_b64 s[2:3], -1, 0
	s_and_b64 s[0:1], s[0:1], s[2:3]
	s_and_saveexec_b64 s[2:3], s[0:1]
	s_cbranch_execz .LBB3_63
; %bb.1:
	v_add_u32_e32 v1, 1, v0
	v_cvt_f64_i32_e32 v[5:6], v1
	s_load_dwordx2 s[44:45], s[4:5], 0x24
	v_mad_i64_i32 v[13:14], s[0:1], v0, 12, s[4:5]
	v_div_scale_f64 v[1:2], s[0:1], v[5:6], v[5:6], 1.0
	v_and_b32_e32 v3, 1, v0
	v_and_b32_e32 v15, 2, v0
	;; [unrolled: 1-line block ×3, first 2 shown]
	v_mul_lo_u32 v44, v0, s41
	v_mul_lo_u32 v45, v0, s42
	s_waitcnt lgkmcnt(0)
	v_mul_lo_u32 v0, s45, v0
	s_load_dwordx8 s[16:23], s[4:5], 0xb0
	s_load_dwordx8 s[24:31], s[4:5], 0x90
	s_cmp_gt_i32 s41, 0
	s_cselect_b64 s[6:7], -1, 0
	s_cmp_gt_i32 s40, 0
	s_cselect_b64 s[8:9], -1, 0
	s_cmp_gt_i32 s45, 0
	v_lshlrev_b32_e32 v47, 2, v0
	v_cndmask_b32_e64 v0, 0, 1, s[6:7]
	v_rcp_f64_e32 v[7:8], v[1:2]
	s_cselect_b64 s[46:47], -1, 0
	s_cmp_gt_i32 s44, 0
	v_cmp_ne_u32_e64 s[6:7], 1, v0
	v_cndmask_b32_e64 v0, 0, 1, s[8:9]
	s_mov_b32 s50, 0
	v_cmp_eq_u32_e64 s[0:1], 0, v15
	v_cmp_eq_u32_e64 s[2:3], 0, v3
	;; [unrolled: 1-line block ×3, first 2 shown]
	v_add_u32_e32 v46, 3, v15
	s_cselect_b64 s[48:49], -1, 0
	s_lshl_b32 s33, s44, 2
	s_lshl_b32 s54, s45, 2
	v_cmp_ne_u32_e64 s[8:9], 1, v0
	s_mov_b32 s51, 0x3fd00000
	s_mov_b32 s55, 0
	v_fma_f64 v[9:10], -v[1:2], v[7:8], 1.0
	v_fma_f64 v[7:8], v[7:8], v[9:10], v[7:8]
	v_div_scale_f64 v[9:10], vcc, 1.0, v[5:6], 1.0
	v_fma_f64 v[11:12], -v[1:2], v[7:8], 1.0
	v_fma_f64 v[7:8], v[7:8], v[11:12], v[7:8]
	v_mul_f64 v[11:12], v[9:10], v[7:8]
	v_fma_f64 v[1:2], -v[1:2], v[11:12], v[9:10]
	v_div_fmas_f64 v[1:2], v[1:2], v[7:8], v[11:12]
	v_add_co_u32_e32 v7, vcc, 44, v13
	v_addc_co_u32_e32 v8, vcc, 0, v14, vcc
	v_mov_b32_e32 v11, 0
	v_div_fixup_f64 v[9:10], v[1:2], v[5:6], 1.0
	s_branch .LBB3_3
.LBB3_2:                                ;   in Loop: Header=BB3_3 Depth=1
	s_add_i32 s55, s55, 1
	s_cmp_eq_u32 s55, s36
	s_cbranch_scc1 .LBB3_63
.LBB3_3:                                ; =>This Loop Header: Depth=1
                                        ;     Child Loop BB3_6 Depth 2
                                        ;       Child Loop BB3_9 Depth 3
                                        ;         Child Loop BB3_14 Depth 4
                                        ;           Child Loop BB3_16 Depth 5
                                        ;         Child Loop BB3_19 Depth 4
                                        ;           Child Loop BB3_21 Depth 5
	;; [unrolled: 2-line block ×4, first 2 shown]
                                        ;         Child Loop BB3_33 Depth 4
                                        ;         Child Loop BB3_36 Depth 4
                                        ;           Child Loop BB3_38 Depth 5
                                        ;           Child Loop BB3_40 Depth 5
                                        ;         Child Loop BB3_43 Depth 4
                                        ;           Child Loop BB3_45 Depth 5
                                        ;           Child Loop BB3_47 Depth 5
	;; [unrolled: 3-line block ×4, first 2 shown]
	s_and_b64 vcc, exec, s[6:7]
	s_cbranch_vccnz .LBB3_2
; %bb.4:                                ;   in Loop: Header=BB3_3 Depth=1
	s_mov_b32 s56, 0
	s_branch .LBB3_6
.LBB3_5:                                ;   in Loop: Header=BB3_6 Depth=2
	s_add_i32 s56, s56, 1
	s_cmp_eq_u32 s56, s41
	s_cbranch_scc1 .LBB3_2
.LBB3_6:                                ;   Parent Loop BB3_3 Depth=1
                                        ; =>  This Loop Header: Depth=2
                                        ;       Child Loop BB3_9 Depth 3
                                        ;         Child Loop BB3_14 Depth 4
                                        ;           Child Loop BB3_16 Depth 5
                                        ;         Child Loop BB3_19 Depth 4
                                        ;           Child Loop BB3_21 Depth 5
	;; [unrolled: 2-line block ×4, first 2 shown]
                                        ;         Child Loop BB3_33 Depth 4
                                        ;         Child Loop BB3_36 Depth 4
                                        ;           Child Loop BB3_38 Depth 5
                                        ;           Child Loop BB3_40 Depth 5
                                        ;         Child Loop BB3_43 Depth 4
                                        ;           Child Loop BB3_45 Depth 5
                                        ;           Child Loop BB3_47 Depth 5
	;; [unrolled: 3-line block ×4, first 2 shown]
	s_and_b64 vcc, exec, s[8:9]
	s_cbranch_vccnz .LBB3_5
; %bb.7:                                ;   in Loop: Header=BB3_6 Depth=2
	global_load_dword v0, v[7:8], off offset:8
	s_not_b32 s10, s56
	s_add_i32 s10, s41, s10
	v_mov_b32_e32 v1, s56
	v_mov_b32_e32 v2, s10
	v_cndmask_b32_e64 v13, v2, v1, s[0:1]
	v_add_u32_e32 v2, v13, v44
	v_mul_lo_u32 v48, v2, s40
	v_xad_u32 v2, v13, -1, s41
	s_mov_b32 s57, 0
	v_cndmask_b32_e64 v49, v2, v1, s[0:1]
	s_waitcnt vmcnt(0)
	v_cmp_ne_u32_e64 s[10:11], 0, v0
	s_branch .LBB3_9
.LBB3_8:                                ;   in Loop: Header=BB3_9 Depth=3
	s_or_b64 exec, exec, s[52:53]
	s_add_i32 s57, s57, 1
	s_cmp_eq_u32 s57, s40
	s_cbranch_scc1 .LBB3_5
.LBB3_9:                                ;   Parent Loop BB3_3 Depth=1
                                        ;     Parent Loop BB3_6 Depth=2
                                        ; =>    This Loop Header: Depth=3
                                        ;         Child Loop BB3_14 Depth 4
                                        ;           Child Loop BB3_16 Depth 5
                                        ;         Child Loop BB3_19 Depth 4
                                        ;           Child Loop BB3_21 Depth 5
	;; [unrolled: 2-line block ×4, first 2 shown]
                                        ;         Child Loop BB3_33 Depth 4
                                        ;         Child Loop BB3_36 Depth 4
                                        ;           Child Loop BB3_38 Depth 5
                                        ;           Child Loop BB3_40 Depth 5
                                        ;         Child Loop BB3_43 Depth 4
                                        ;           Child Loop BB3_45 Depth 5
                                        ;           Child Loop BB3_47 Depth 5
                                        ;         Child Loop BB3_50 Depth 4
                                        ;           Child Loop BB3_52 Depth 5
                                        ;           Child Loop BB3_54 Depth 5
                                        ;         Child Loop BB3_57 Depth 4
                                        ;           Child Loop BB3_59 Depth 5
                                        ;           Child Loop BB3_61 Depth 5
	s_and_saveexec_b64 s[52:53], s[10:11]
	s_cbranch_execz .LBB3_8
; %bb.10:                               ;   in Loop: Header=BB3_9 Depth=3
	s_not_b32 s12, s57
	s_add_i32 s12, s40, s12
	v_mov_b32_e32 v0, s12
	v_mov_b32_e32 v1, s57
	v_cndmask_b32_e64 v3, v0, v1, s[2:3]
	v_xad_u32 v0, v3, -1, s40
	v_cndmask_b32_e64 v0, v0, v1, s[2:3]
	v_add_u32_e32 v0, v49, v0
	v_sub_u32_e32 v0, s55, v0
	v_xad_u32 v1, v0, -1, s42
	v_cndmask_b32_e64 v23, v1, v0, s[4:5]
	v_cmp_lt_i32_e32 vcc, -1, v23
	v_cmp_gt_i32_e64 s[12:13], s42, v23
	s_and_b64 s[12:13], vcc, s[12:13]
	s_and_b64 exec, exec, s[12:13]
	s_cbranch_execz .LBB3_8
; %bb.11:                               ;   in Loop: Header=BB3_9 Depth=3
	global_load_dword v12, v[7:8], off
	v_mad_u64_u32 v[0:1], s[12:13], v23, s43, v[4:5]
	v_cndmask_b32_e64 v2, 0, 1, s[46:47]
	s_andn2_b64 vcc, exec, s[46:47]
	v_mad_u64_u32 v[0:1], s[12:13], v0, s41, v[13:14]
	v_add_u32_e32 v1, v3, v48
	v_mad_u64_u32 v[14:15], s[12:13], v0, s40, v[3:4]
	v_mad_u64_u32 v[0:1], s[12:13], v1, s43, v[4:5]
	v_cmp_ne_u32_e64 s[12:13], 1, v2
	v_lshlrev_b32_e32 v51, 2, v14
	v_lshlrev_b32_e32 v50, 2, v0
	s_waitcnt vmcnt(0)
	v_mul_lo_u32 v15, v12, s39
	v_ashrrev_i32_e32 v16, 31, v15
	v_lshlrev_b64 v[1:2], 3, v[15:16]
	s_cbranch_vccnz .LBB3_34
; %bb.12:                               ;   in Loop: Header=BB3_9 Depth=3
	v_mul_lo_u32 v14, s33, v14
	v_mul_lo_u32 v22, v50, s45
	s_waitcnt lgkmcnt(0)
	v_mov_b32_e32 v16, s19
	s_mov_b32 s35, 0
	v_ashrrev_i32_e32 v15, 31, v14
	v_lshlrev_b64 v[14:15], 3, v[14:15]
	v_mov_b32_e32 v24, v47
	v_add_co_u32_e32 v14, vcc, v14, v1
	v_addc_co_u32_e32 v15, vcc, v15, v2, vcc
	v_add_co_u32_e32 v14, vcc, s18, v14
	v_addc_co_u32_e32 v15, vcc, v16, v15, vcc
	s_branch .LBB3_14
.LBB3_13:                               ;   in Loop: Header=BB3_14 Depth=4
	v_add_u32_e32 v18, s35, v22
	v_ashrrev_i32_e32 v19, 31, v18
	v_lshlrev_b64 v[18:19], 3, v[18:19]
	v_mov_b32_e32 v20, s23
	v_add_co_u32_e32 v18, vcc, s22, v18
	s_add_i32 s35, s35, 1
	v_addc_co_u32_e32 v19, vcc, v20, v19, vcc
	s_cmp_lg_u32 s35, s45
	v_add_u32_e32 v24, 1, v24
	global_store_dwordx2 v[18:19], v[16:17], off
	s_cbranch_scc0 .LBB3_17
.LBB3_14:                               ;   Parent Loop BB3_3 Depth=1
                                        ;     Parent Loop BB3_6 Depth=2
                                        ;       Parent Loop BB3_9 Depth=3
                                        ; =>      This Loop Header: Depth=4
                                        ;           Child Loop BB3_16 Depth 5
	v_cndmask_b32_e64 v16, 0, 1, s[48:49]
	v_cmp_ne_u32_e64 s[14:15], 1, v16
	v_mov_b32_e32 v16, 0
	v_mov_b32_e32 v17, 0
	s_andn2_b64 vcc, exec, s[48:49]
	s_cbranch_vccnz .LBB3_13
; %bb.15:                               ;   in Loop: Header=BB3_14 Depth=4
	v_mov_b32_e32 v21, v15
	v_mov_b32_e32 v18, v24
	;; [unrolled: 1-line block ×3, first 2 shown]
	s_mov_b32 s58, s44
.LBB3_16:                               ;   Parent Loop BB3_3 Depth=1
                                        ;     Parent Loop BB3_6 Depth=2
                                        ;       Parent Loop BB3_9 Depth=3
                                        ;         Parent Loop BB3_14 Depth=4
                                        ; =>        This Inner Loop Header: Depth=5
	v_ashrrev_i32_e32 v19, 31, v18
	v_lshlrev_b64 v[27:28], 3, v[18:19]
	v_mov_b32_e32 v29, s31
	v_add_co_u32_e32 v27, vcc, s30, v27
	v_addc_co_u32_e32 v28, vcc, v29, v28, vcc
	global_load_dwordx2 v[25:26], v[20:21], off
	s_add_i32 s58, s58, -1
	global_load_dwordx2 v[27:28], v[27:28], off
	v_add_co_u32_e32 v20, vcc, 8, v20
	v_addc_co_u32_e32 v21, vcc, 0, v21, vcc
	s_cmp_lg_u32 s58, 0
	v_add_u32_e32 v18, s45, v18
	s_waitcnt vmcnt(0)
	v_fma_f64 v[16:17], v[27:28], v[25:26], v[16:17]
	s_cbranch_scc1 .LBB3_16
	s_branch .LBB3_13
.LBB3_17:                               ;   in Loop: Header=BB3_9 Depth=3
	v_mul_lo_u32 v14, v51, s44
	v_mov_b32_e32 v17, s19
	v_add_u32_e32 v52, s45, v22
	s_mov_b32 s35, 0
	v_add_u32_e32 v14, s44, v14
	v_ashrrev_i32_e32 v15, 31, v14
	v_lshlrev_b64 v[15:16], 3, v[14:15]
	v_mov_b32_e32 v24, v47
	v_add_co_u32_e32 v15, vcc, v1, v15
	v_addc_co_u32_e32 v16, vcc, v2, v16, vcc
	v_add_co_u32_e32 v15, vcc, s18, v15
	v_addc_co_u32_e32 v16, vcc, v17, v16, vcc
	s_branch .LBB3_19
.LBB3_18:                               ;   in Loop: Header=BB3_19 Depth=4
	v_add_u32_e32 v19, s35, v52
	v_ashrrev_i32_e32 v20, 31, v19
	v_lshlrev_b64 v[19:20], 3, v[19:20]
	v_mov_b32_e32 v21, s23
	v_add_co_u32_e32 v19, vcc, s22, v19
	s_add_i32 s35, s35, 1
	v_addc_co_u32_e32 v20, vcc, v21, v20, vcc
	s_cmp_lg_u32 s35, s45
	v_add_u32_e32 v24, 1, v24
	global_store_dwordx2 v[19:20], v[17:18], off
	s_cbranch_scc0 .LBB3_22
.LBB3_19:                               ;   Parent Loop BB3_3 Depth=1
                                        ;     Parent Loop BB3_6 Depth=2
                                        ;       Parent Loop BB3_9 Depth=3
                                        ; =>      This Loop Header: Depth=4
                                        ;           Child Loop BB3_21 Depth 5
	v_mov_b32_e32 v17, 0
	v_mov_b32_e32 v18, 0
	s_and_b64 vcc, exec, s[14:15]
	s_cbranch_vccnz .LBB3_18
; %bb.20:                               ;   in Loop: Header=BB3_19 Depth=4
	v_mov_b32_e32 v22, v16
	v_mov_b32_e32 v19, v24
	;; [unrolled: 1-line block ×3, first 2 shown]
	s_mov_b32 s58, s44
.LBB3_21:                               ;   Parent Loop BB3_3 Depth=1
                                        ;     Parent Loop BB3_6 Depth=2
                                        ;       Parent Loop BB3_9 Depth=3
                                        ;         Parent Loop BB3_19 Depth=4
                                        ; =>        This Inner Loop Header: Depth=5
	v_ashrrev_i32_e32 v20, 31, v19
	v_lshlrev_b64 v[27:28], 3, v[19:20]
	v_mov_b32_e32 v29, s31
	v_add_co_u32_e32 v27, vcc, s30, v27
	v_addc_co_u32_e32 v28, vcc, v29, v28, vcc
	global_load_dwordx2 v[25:26], v[21:22], off
	s_add_i32 s58, s58, -1
	global_load_dwordx2 v[27:28], v[27:28], off
	v_add_co_u32_e32 v21, vcc, 8, v21
	v_addc_co_u32_e32 v22, vcc, 0, v22, vcc
	s_cmp_lg_u32 s58, 0
	v_add_u32_e32 v19, s45, v19
	s_waitcnt vmcnt(0)
	v_fma_f64 v[17:18], v[27:28], v[25:26], v[17:18]
	s_cbranch_scc1 .LBB3_21
	s_branch .LBB3_18
.LBB3_22:                               ;   in Loop: Header=BB3_9 Depth=3
	v_add_u32_e32 v14, s44, v14
	v_ashrrev_i32_e32 v15, 31, v14
	v_lshlrev_b64 v[15:16], 3, v[14:15]
	v_mov_b32_e32 v17, s19
	v_add_co_u32_e32 v15, vcc, v1, v15
	v_addc_co_u32_e32 v16, vcc, v2, v16, vcc
	v_add_co_u32_e32 v15, vcc, s18, v15
	v_add_u32_e32 v24, s45, v52
	v_addc_co_u32_e32 v16, vcc, v17, v16, vcc
	s_mov_b32 s35, 0
	v_mov_b32_e32 v25, v47
	s_branch .LBB3_24
.LBB3_23:                               ;   in Loop: Header=BB3_24 Depth=4
	v_add_u32_e32 v19, s35, v24
	v_ashrrev_i32_e32 v20, 31, v19
	v_lshlrev_b64 v[19:20], 3, v[19:20]
	v_mov_b32_e32 v21, s23
	v_add_co_u32_e32 v19, vcc, s22, v19
	s_add_i32 s35, s35, 1
	v_addc_co_u32_e32 v20, vcc, v21, v20, vcc
	s_cmp_lg_u32 s35, s45
	v_add_u32_e32 v25, 1, v25
	global_store_dwordx2 v[19:20], v[17:18], off
	s_cbranch_scc0 .LBB3_27
.LBB3_24:                               ;   Parent Loop BB3_3 Depth=1
                                        ;     Parent Loop BB3_6 Depth=2
                                        ;       Parent Loop BB3_9 Depth=3
                                        ; =>      This Loop Header: Depth=4
                                        ;           Child Loop BB3_26 Depth 5
	v_mov_b32_e32 v17, 0
	v_mov_b32_e32 v18, 0
	s_and_b64 vcc, exec, s[14:15]
	s_cbranch_vccnz .LBB3_23
; %bb.25:                               ;   in Loop: Header=BB3_24 Depth=4
	v_mov_b32_e32 v22, v16
	v_mov_b32_e32 v19, v25
	;; [unrolled: 1-line block ×3, first 2 shown]
	s_mov_b32 s58, s44
.LBB3_26:                               ;   Parent Loop BB3_3 Depth=1
                                        ;     Parent Loop BB3_6 Depth=2
                                        ;       Parent Loop BB3_9 Depth=3
                                        ;         Parent Loop BB3_24 Depth=4
                                        ; =>        This Inner Loop Header: Depth=5
	v_ashrrev_i32_e32 v20, 31, v19
	v_lshlrev_b64 v[28:29], 3, v[19:20]
	v_mov_b32_e32 v30, s31
	v_add_co_u32_e32 v28, vcc, s30, v28
	v_addc_co_u32_e32 v29, vcc, v30, v29, vcc
	global_load_dwordx2 v[26:27], v[21:22], off
	s_add_i32 s58, s58, -1
	global_load_dwordx2 v[28:29], v[28:29], off
	v_add_co_u32_e32 v21, vcc, 8, v21
	v_addc_co_u32_e32 v22, vcc, 0, v22, vcc
	s_cmp_lg_u32 s58, 0
	v_add_u32_e32 v19, s45, v19
	s_waitcnt vmcnt(0)
	v_fma_f64 v[17:18], v[28:29], v[26:27], v[17:18]
	s_cbranch_scc1 .LBB3_26
	s_branch .LBB3_23
.LBB3_27:                               ;   in Loop: Header=BB3_9 Depth=3
	v_add_u32_e32 v14, s44, v14
	v_ashrrev_i32_e32 v15, 31, v14
	v_lshlrev_b64 v[14:15], 3, v[14:15]
	v_mov_b32_e32 v16, s19
	v_add_co_u32_e32 v14, vcc, v1, v14
	v_addc_co_u32_e32 v15, vcc, v2, v15, vcc
	v_add_co_u32_e32 v14, vcc, s18, v14
	v_add_u32_e32 v22, s45, v24
	v_addc_co_u32_e32 v15, vcc, v16, v15, vcc
	s_mov_b32 s35, 0
	v_mov_b32_e32 v24, v47
	s_branch .LBB3_29
.LBB3_28:                               ;   in Loop: Header=BB3_29 Depth=4
	v_add_u32_e32 v18, s35, v22
	v_ashrrev_i32_e32 v19, 31, v18
	v_lshlrev_b64 v[18:19], 3, v[18:19]
	v_mov_b32_e32 v20, s23
	v_add_co_u32_e32 v18, vcc, s22, v18
	s_add_i32 s35, s35, 1
	v_addc_co_u32_e32 v19, vcc, v20, v19, vcc
	s_cmp_lg_u32 s35, s45
	v_add_u32_e32 v24, 1, v24
	global_store_dwordx2 v[18:19], v[16:17], off
	s_cbranch_scc0 .LBB3_32
.LBB3_29:                               ;   Parent Loop BB3_3 Depth=1
                                        ;     Parent Loop BB3_6 Depth=2
                                        ;       Parent Loop BB3_9 Depth=3
                                        ; =>      This Loop Header: Depth=4
                                        ;           Child Loop BB3_31 Depth 5
	v_mov_b32_e32 v16, 0
	v_mov_b32_e32 v17, 0
	s_and_b64 vcc, exec, s[14:15]
	s_cbranch_vccnz .LBB3_28
; %bb.30:                               ;   in Loop: Header=BB3_29 Depth=4
	v_mov_b32_e32 v21, v15
	v_mov_b32_e32 v18, v24
	;; [unrolled: 1-line block ×3, first 2 shown]
	s_mov_b32 s58, s44
.LBB3_31:                               ;   Parent Loop BB3_3 Depth=1
                                        ;     Parent Loop BB3_6 Depth=2
                                        ;       Parent Loop BB3_9 Depth=3
                                        ;         Parent Loop BB3_29 Depth=4
                                        ; =>        This Inner Loop Header: Depth=5
	v_ashrrev_i32_e32 v19, 31, v18
	v_lshlrev_b64 v[27:28], 3, v[18:19]
	v_mov_b32_e32 v29, s31
	v_add_co_u32_e32 v27, vcc, s30, v27
	v_addc_co_u32_e32 v28, vcc, v29, v28, vcc
	global_load_dwordx2 v[25:26], v[20:21], off
	s_add_i32 s58, s58, -1
	global_load_dwordx2 v[27:28], v[27:28], off
	v_add_co_u32_e32 v20, vcc, 8, v20
	v_addc_co_u32_e32 v21, vcc, 0, v21, vcc
	s_cmp_lg_u32 s58, 0
	v_add_u32_e32 v18, s45, v18
	s_waitcnt vmcnt(0)
	v_fma_f64 v[16:17], v[27:28], v[25:26], v[16:17]
	s_cbranch_scc1 .LBB3_31
	s_branch .LBB3_28
.LBB3_32:                               ;   in Loop: Header=BB3_9 Depth=3
	s_add_i32 s14, s56, s57
	s_sub_i32 s14, s55, s14
	s_not_b32 s15, s14
	v_mul_lo_u32 v12, v12, s42
	s_add_i32 s15, s42, s15
	v_mov_b32_e32 v14, s15
	v_mov_b32_e32 v15, s14
	v_cndmask_b32_e64 v14, v14, v15, s[4:5]
	v_add_u32_e32 v15, s38, v13
	v_add_u32_e32 v20, s37, v3
	v_add3_u32 v21, v15, v14, v12
	v_mad_u64_u32 v[16:17], s[14:15], v21, 3, v[20:21]
	v_cndmask_b32_e64 v22, 1, 3, s[4:5]
	v_add_u32_e32 v18, v46, v21
	v_and_b32_e32 v12, 3, v16
	v_xor_b32_e32 v12, 2, v12
	v_lshlrev_b32_e64 v14, v12, 1
	v_add_u32_e32 v21, v21, v22
	v_cvt_f64_u32_e32 v[14:15], v14
	v_sub_u32_e32 v18, v20, v18
	v_sub_u32_e32 v20, v20, v21
	v_and_b32_e32 v20, 3, v20
	v_xor_b32_e32 v20, 2, v20
	v_add_u32_e32 v22, v23, v45
	v_lshlrev_b32_e32 v26, 20, v20
	v_mad_u64_u32 v[20:21], s[58:59], v22, s40, v[3:4]
	v_mad_u64_u32 v[21:22], s[58:59], v22, s41, v[13:14]
	;; [unrolled: 1-line block ×4, first 2 shown]
	v_xor_b32_e32 v21, 0x3ff00000, v26
	v_lshlrev_b32_e32 v25, 2, v24
	v_lshlrev_b32_e32 v23, 2, v22
	v_mul_lo_u32 v26, s45, v23
	v_mul_lo_u32 v22, s54, v22
	;; [unrolled: 1-line block ×3, first 2 shown]
	v_add_u32_e32 v27, 2, v50
	v_add_u32_e32 v54, s45, v26
	v_or_b32_e32 v26, 2, v23
	v_or_b32_e32 v23, 3, v23
	v_mul_lo_u32 v56, s45, v23
	v_ashrrev_i32_e32 v23, 31, v22
	v_lshlrev_b64 v[22:23], 3, v[22:23]
	v_mul_lo_u32 v55, s45, v26
	v_mov_b32_e32 v26, s29
	v_add_co_u32_e32 v22, vcc, s28, v22
	v_mul_lo_u32 v53, s45, v27
	v_mul_lo_u32 v27, s45, v25
	v_addc_co_u32_e32 v23, vcc, v26, v23, vcc
	v_or_b32_e32 v26, 2, v25
	v_or_b32_e32 v25, 3, v25
	v_mul_lo_u32 v58, s45, v26
	v_mul_lo_u32 v59, s45, v25
	v_ashrrev_i32_e32 v25, 31, v24
	v_mul_lo_u32 v26, s54, v0
	v_lshlrev_b64 v[24:25], 3, v[24:25]
	v_add_u32_e32 v57, s45, v27
	v_mov_b32_e32 v27, s27
	v_add_co_u32_e32 v24, vcc, s26, v24
	v_addc_co_u32_e32 v25, vcc, v27, v25, vcc
	v_ashrrev_i32_e32 v27, 31, v26
	v_cndmask_b32_e64 v17, 1, 3, s[2:3]
	v_lshlrev_b64 v[28:29], 3, v[26:27]
	v_add_u32_e32 v16, v16, v17
	v_add_u32_e32 v3, 3, v50
	v_and_b32_e32 v16, 3, v16
	v_and_b32_e32 v18, 3, v18
	v_mul_lo_u32 v3, s45, v3
	v_mov_b32_e32 v27, s23
	v_add_co_u32_e32 v26, vcc, s22, v28
	v_xor_b32_e32 v16, 2, v16
	v_xor_b32_e32 v18, 2, v18
	v_addc_co_u32_e32 v27, vcc, v27, v29, vcc
	v_lshlrev_b32_e32 v12, 20, v12
	v_lshlrev_b32_e32 v16, 20, v16
	;; [unrolled: 1-line block ×3, first 2 shown]
	v_mov_b32_e32 v30, s25
	v_add_co_u32_e32 v28, vcc, s24, v28
	v_xor_b32_e32 v12, 0x3ff00000, v12
	s_mov_b32 s14, 0
	v_xor_b32_e32 v17, 0x3ff00000, v16
	v_mov_b32_e32 v16, v11
	v_xor_b32_e32 v19, 0x3ff00000, v18
	v_mov_b32_e32 v18, v11
	v_mov_b32_e32 v20, v11
	v_addc_co_u32_e32 v29, vcc, v30, v29, vcc
.LBB3_33:                               ;   Parent Loop BB3_3 Depth=1
                                        ;     Parent Loop BB3_6 Depth=2
                                        ;       Parent Loop BB3_9 Depth=3
                                        ; =>      This Inner Loop Header: Depth=4
	global_load_dwordx2 v[32:33], v[26:27], off
	global_load_dwordx2 v[34:35], v[28:29], off
	;; [unrolled: 1-line block ×3, first 2 shown]
	s_lshl_b32 s15, s14, 20
	s_and_b32 s15, s15, 0x700000
	v_mov_b32_e32 v30, s50
	s_xor_b32 s35, s15, 0xbff00000
	v_mov_b32_e32 v31, s51
	v_add_f64 v[30:31], s[34:35], v[30:31]
	v_add_u32_e32 v40, s14, v57
	v_ashrrev_i32_e32 v41, 31, v40
	v_mov_b32_e32 v38, s25
	v_lshlrev_b64 v[40:41], 3, v[40:41]
	v_mov_b32_e32 v42, s27
	v_mov_b32_e32 v60, s29
	s_waitcnt vmcnt(1)
	v_mul_f64 v[34:35], v[34:35], 0.5
	s_waitcnt vmcnt(0)
	v_ldexp_f64 v[36:37], v[36:37], -2
	v_mul_f64 v[36:37], v[18:19], v[36:37]
	v_fma_f64 v[34:35], v[20:21], v[34:35], v[36:37]
	global_load_dwordx2 v[36:37], v[22:23], off
	s_waitcnt vmcnt(0)
	v_mul_f64 v[36:37], v[36:37], v[30:31]
	v_fma_f64 v[34:35], v[16:17], v[36:37], v[34:35]
	v_mul_f64 v[34:35], v[9:10], v[34:35]
	v_fma_f64 v[32:33], v[11:12], v[32:33], v[34:35]
	v_mul_f64 v[32:33], v[32:33], v[14:15]
	global_store_dwordx2 v[26:27], v[32:33], off
	v_mul_f64 v[32:33], v[32:33], v[5:6]
	global_store_dwordx2 v[28:29], v[32:33], off
	global_store_dwordx2 v[24:25], v[32:33], off
	;; [unrolled: 1-line block ×3, first 2 shown]
	v_add_u32_e32 v32, s14, v52
	v_ashrrev_i32_e32 v33, 31, v32
	v_lshlrev_b64 v[34:35], 3, v[32:33]
	v_mov_b32_e32 v33, s23
	v_add_co_u32_e32 v32, vcc, s22, v34
	v_addc_co_u32_e32 v33, vcc, v33, v35, vcc
	v_add_co_u32_e32 v34, vcc, s24, v34
	v_addc_co_u32_e32 v35, vcc, v38, v35, vcc
	v_add_co_u32_e32 v40, vcc, s26, v40
	v_addc_co_u32_e32 v41, vcc, v42, v41, vcc
	global_load_dwordx2 v[42:43], v[40:41], off
	global_load_dwordx2 v[38:39], v[34:35], off
	;; [unrolled: 1-line block ×3, first 2 shown]
	s_waitcnt vmcnt(2)
	v_ldexp_f64 v[42:43], v[42:43], -2
	s_waitcnt vmcnt(1)
	v_mul_f64 v[38:39], v[38:39], 0.5
	v_mul_f64 v[42:43], v[18:19], v[42:43]
	v_fma_f64 v[38:39], v[20:21], v[38:39], v[42:43]
	v_add_u32_e32 v42, s14, v54
	v_ashrrev_i32_e32 v43, 31, v42
	v_lshlrev_b64 v[42:43], 3, v[42:43]
	v_add_co_u32_e32 v42, vcc, s28, v42
	v_addc_co_u32_e32 v43, vcc, v60, v43, vcc
	global_load_dwordx2 v[60:61], v[42:43], off
	s_waitcnt vmcnt(0)
	v_mul_f64 v[60:61], v[30:31], v[60:61]
	v_fma_f64 v[38:39], v[16:17], v[60:61], v[38:39]
	v_mov_b32_e32 v60, s29
	v_mul_f64 v[38:39], v[9:10], v[38:39]
	v_fma_f64 v[36:37], v[11:12], v[36:37], v[38:39]
	v_mov_b32_e32 v38, s25
	v_mul_f64 v[36:37], v[36:37], v[14:15]
	global_store_dwordx2 v[32:33], v[36:37], off
	v_mul_f64 v[32:33], v[36:37], v[5:6]
	global_store_dwordx2 v[34:35], v[32:33], off
	global_store_dwordx2 v[40:41], v[32:33], off
	;; [unrolled: 1-line block ×3, first 2 shown]
	v_add_u32_e32 v32, s14, v53
	v_ashrrev_i32_e32 v33, 31, v32
	v_lshlrev_b64 v[34:35], 3, v[32:33]
	v_mov_b32_e32 v33, s23
	v_add_co_u32_e32 v32, vcc, s22, v34
	v_add_u32_e32 v40, s14, v58
	v_addc_co_u32_e32 v33, vcc, v33, v35, vcc
	v_ashrrev_i32_e32 v41, 31, v40
	v_add_co_u32_e32 v34, vcc, s24, v34
	v_lshlrev_b64 v[40:41], 3, v[40:41]
	v_addc_co_u32_e32 v35, vcc, v38, v35, vcc
	v_add_co_u32_e32 v40, vcc, s26, v40
	v_mov_b32_e32 v42, s27
	v_addc_co_u32_e32 v41, vcc, v42, v41, vcc
	global_load_dwordx2 v[42:43], v[40:41], off
	global_load_dwordx2 v[38:39], v[34:35], off
	;; [unrolled: 1-line block ×3, first 2 shown]
	s_waitcnt vmcnt(2)
	v_ldexp_f64 v[42:43], v[42:43], -2
	s_waitcnt vmcnt(1)
	v_mul_f64 v[38:39], v[38:39], 0.5
	v_mul_f64 v[42:43], v[18:19], v[42:43]
	v_fma_f64 v[38:39], v[20:21], v[38:39], v[42:43]
	v_add_u32_e32 v42, s14, v55
	v_ashrrev_i32_e32 v43, 31, v42
	v_lshlrev_b64 v[42:43], 3, v[42:43]
	v_add_co_u32_e32 v42, vcc, s28, v42
	v_addc_co_u32_e32 v43, vcc, v60, v43, vcc
	global_load_dwordx2 v[60:61], v[42:43], off
	s_waitcnt vmcnt(0)
	v_mul_f64 v[60:61], v[30:31], v[60:61]
	v_fma_f64 v[38:39], v[16:17], v[60:61], v[38:39]
	v_mov_b32_e32 v60, s29
	v_mul_f64 v[38:39], v[9:10], v[38:39]
	v_fma_f64 v[36:37], v[11:12], v[36:37], v[38:39]
	v_mov_b32_e32 v38, s25
	v_mul_f64 v[36:37], v[36:37], v[14:15]
	global_store_dwordx2 v[32:33], v[36:37], off
	v_mul_f64 v[32:33], v[36:37], v[5:6]
	global_store_dwordx2 v[34:35], v[32:33], off
	global_store_dwordx2 v[40:41], v[32:33], off
	;; [unrolled: 1-line block ×3, first 2 shown]
	v_add_u32_e32 v32, s14, v3
	v_ashrrev_i32_e32 v33, 31, v32
	v_lshlrev_b64 v[34:35], 3, v[32:33]
	v_mov_b32_e32 v33, s23
	v_add_co_u32_e32 v32, vcc, s22, v34
	v_addc_co_u32_e32 v33, vcc, v33, v35, vcc
	v_add_co_u32_e32 v34, vcc, s24, v34
	v_addc_co_u32_e32 v35, vcc, v38, v35, vcc
	global_load_dwordx2 v[38:39], v[34:35], off
	v_mov_b32_e32 v42, s27
	global_load_dwordx2 v[36:37], v[32:33], off
	s_waitcnt vmcnt(1)
	v_mul_f64 v[40:41], v[38:39], 0.5
	v_add_u32_e32 v38, s14, v59
	v_ashrrev_i32_e32 v39, 31, v38
	v_lshlrev_b64 v[38:39], 3, v[38:39]
	v_add_co_u32_e32 v38, vcc, s26, v38
	v_addc_co_u32_e32 v39, vcc, v42, v39, vcc
	global_load_dwordx2 v[42:43], v[38:39], off
	s_waitcnt vmcnt(0)
	v_ldexp_f64 v[42:43], v[42:43], -2
	v_mul_f64 v[42:43], v[18:19], v[42:43]
	v_fma_f64 v[40:41], v[20:21], v[40:41], v[42:43]
	v_add_u32_e32 v42, s14, v56
	v_ashrrev_i32_e32 v43, 31, v42
	v_lshlrev_b64 v[42:43], 3, v[42:43]
	s_add_i32 s14, s14, 1
	v_add_co_u32_e32 v42, vcc, s28, v42
	v_addc_co_u32_e32 v43, vcc, v60, v43, vcc
	global_load_dwordx2 v[60:61], v[42:43], off
	v_add_co_u32_e32 v22, vcc, 8, v22
	v_addc_co_u32_e32 v23, vcc, 0, v23, vcc
	v_add_co_u32_e32 v24, vcc, 8, v24
	v_addc_co_u32_e32 v25, vcc, 0, v25, vcc
	;; [unrolled: 2-line block ×4, first 2 shown]
	s_cmp_eq_u32 s45, s14
	s_waitcnt vmcnt(0)
	v_mul_f64 v[30:31], v[30:31], v[60:61]
	v_fma_f64 v[30:31], v[16:17], v[30:31], v[40:41]
	v_mul_f64 v[30:31], v[9:10], v[30:31]
	v_fma_f64 v[30:31], v[11:12], v[36:37], v[30:31]
	v_mul_f64 v[30:31], v[30:31], v[14:15]
	global_store_dwordx2 v[32:33], v[30:31], off
	v_mul_f64 v[30:31], v[30:31], v[5:6]
	global_store_dwordx2 v[34:35], v[30:31], off
	global_store_dwordx2 v[38:39], v[30:31], off
	;; [unrolled: 1-line block ×3, first 2 shown]
	s_cbranch_scc0 .LBB3_33
.LBB3_34:                               ;   in Loop: Header=BB3_9 Depth=3
	s_and_b64 vcc, exec, s[48:49]
	s_cbranch_vccz .LBB3_8
; %bb.35:                               ;   in Loop: Header=BB3_9 Depth=3
	v_mul_lo_u32 v0, s54, v0
	s_waitcnt lgkmcnt(0)
	v_add_co_u32_e32 v12, vcc, s20, v1
	v_mov_b32_e32 v3, s21
	v_ashrrev_i32_e32 v1, 31, v0
	v_mul_lo_u32 v21, v51, s44
	v_lshlrev_b64 v[0:1], 3, v[0:1]
	v_addc_co_u32_e32 v20, vcc, v3, v2, vcc
	v_mov_b32_e32 v2, s23
	v_add_co_u32_e32 v14, vcc, s22, v0
	v_addc_co_u32_e32 v15, vcc, v2, v1, vcc
	s_mov_b32 s35, 0
	v_mov_b32_e32 v22, v47
.LBB3_36:                               ;   Parent Loop BB3_3 Depth=1
                                        ;     Parent Loop BB3_6 Depth=2
                                        ;       Parent Loop BB3_9 Depth=3
                                        ; =>      This Loop Header: Depth=4
                                        ;           Child Loop BB3_38 Depth 5
                                        ;           Child Loop BB3_40 Depth 5
	v_mov_b32_e32 v16, 0
	v_mov_b32_e32 v17, 0
	s_and_b64 vcc, exec, s[12:13]
	s_cbranch_vccnz .LBB3_39
; %bb.37:                               ;   in Loop: Header=BB3_36 Depth=4
	v_mov_b32_e32 v2, v14
	v_mov_b32_e32 v0, v22
	;; [unrolled: 1-line block ×3, first 2 shown]
	s_mov_b32 s14, s45
.LBB3_38:                               ;   Parent Loop BB3_3 Depth=1
                                        ;     Parent Loop BB3_6 Depth=2
                                        ;       Parent Loop BB3_9 Depth=3
                                        ;         Parent Loop BB3_36 Depth=4
                                        ; =>        This Inner Loop Header: Depth=5
	v_ashrrev_i32_e32 v1, 31, v0
	v_lshlrev_b64 v[23:24], 3, v[0:1]
	v_mov_b32_e32 v25, s17
	v_add_co_u32_e32 v23, vcc, s16, v23
	v_addc_co_u32_e32 v24, vcc, v25, v24, vcc
	global_load_dwordx2 v[18:19], v[2:3], off
	s_add_i32 s14, s14, -1
	global_load_dwordx2 v[23:24], v[23:24], off
	v_add_co_u32_e32 v2, vcc, 8, v2
	v_addc_co_u32_e32 v3, vcc, 0, v3, vcc
	s_cmp_lg_u32 s14, 0
	v_add_u32_e32 v0, 4, v0
	s_waitcnt vmcnt(0)
	v_fma_f64 v[16:17], v[23:24], v[18:19], v[16:17]
	s_cbranch_scc1 .LBB3_38
.LBB3_39:                               ;   in Loop: Header=BB3_36 Depth=4
	v_add_u32_e32 v0, s35, v21
	v_ashrrev_i32_e32 v1, 31, v0
	v_lshlrev_b64 v[0:1], 3, v[0:1]
	s_mov_b64 s[14:15], 0
	v_add_co_u32_e32 v18, vcc, v12, v0
	v_addc_co_u32_e32 v19, vcc, v20, v1, vcc
	global_load_dwordx2 v[2:3], v[18:19], off
.LBB3_40:                               ;   Parent Loop BB3_3 Depth=1
                                        ;     Parent Loop BB3_6 Depth=2
                                        ;       Parent Loop BB3_9 Depth=3
                                        ;         Parent Loop BB3_36 Depth=4
                                        ; =>        This Inner Loop Header: Depth=5
	s_waitcnt vmcnt(0)
	v_add_f64 v[0:1], v[2:3], v[16:17]
	global_atomic_cmpswap_x2 v[0:1], v[18:19], v[0:3], off glc
	s_waitcnt vmcnt(0)
	v_cmp_eq_u64_e32 vcc, v[0:1], v[2:3]
	v_mov_b32_e32 v3, v1
	s_or_b64 s[14:15], vcc, s[14:15]
	v_mov_b32_e32 v2, v0
	s_andn2_b64 exec, exec, s[14:15]
	s_cbranch_execnz .LBB3_40
; %bb.41:                               ;   in Loop: Header=BB3_36 Depth=4
	s_or_b64 exec, exec, s[14:15]
	s_add_i32 s35, s35, 1
	s_cmp_lg_u32 s35, s44
	v_add_u32_e32 v22, 1, v22
	s_cbranch_scc1 .LBB3_36
; %bb.42:                               ;   in Loop: Header=BB3_9 Depth=3
	v_mul_lo_u32 v0, s45, v50
	v_mov_b32_e32 v2, s23
	v_add_u32_e32 v21, s44, v21
	s_mov_b32 s35, 0
	v_add_u32_e32 v0, s45, v0
	v_ashrrev_i32_e32 v1, 31, v0
	v_lshlrev_b64 v[0:1], 3, v[0:1]
	v_mov_b32_e32 v22, v47
	v_add_co_u32_e32 v14, vcc, s22, v0
	v_addc_co_u32_e32 v15, vcc, v2, v1, vcc
.LBB3_43:                               ;   Parent Loop BB3_3 Depth=1
                                        ;     Parent Loop BB3_6 Depth=2
                                        ;       Parent Loop BB3_9 Depth=3
                                        ; =>      This Loop Header: Depth=4
                                        ;           Child Loop BB3_45 Depth 5
                                        ;           Child Loop BB3_47 Depth 5
	v_mov_b32_e32 v16, 0
	v_mov_b32_e32 v17, 0
	s_and_b64 vcc, exec, s[12:13]
	s_cbranch_vccnz .LBB3_46
; %bb.44:                               ;   in Loop: Header=BB3_43 Depth=4
	v_mov_b32_e32 v2, v14
	v_mov_b32_e32 v0, v22
	;; [unrolled: 1-line block ×3, first 2 shown]
	s_mov_b32 s14, s45
.LBB3_45:                               ;   Parent Loop BB3_3 Depth=1
                                        ;     Parent Loop BB3_6 Depth=2
                                        ;       Parent Loop BB3_9 Depth=3
                                        ;         Parent Loop BB3_43 Depth=4
                                        ; =>        This Inner Loop Header: Depth=5
	v_ashrrev_i32_e32 v1, 31, v0
	v_lshlrev_b64 v[23:24], 3, v[0:1]
	v_mov_b32_e32 v25, s17
	v_add_co_u32_e32 v23, vcc, s16, v23
	v_addc_co_u32_e32 v24, vcc, v25, v24, vcc
	global_load_dwordx2 v[18:19], v[2:3], off
	s_add_i32 s14, s14, -1
	global_load_dwordx2 v[23:24], v[23:24], off
	v_add_co_u32_e32 v2, vcc, 8, v2
	v_addc_co_u32_e32 v3, vcc, 0, v3, vcc
	s_cmp_lg_u32 s14, 0
	v_add_u32_e32 v0, 4, v0
	s_waitcnt vmcnt(0)
	v_fma_f64 v[16:17], v[23:24], v[18:19], v[16:17]
	s_cbranch_scc1 .LBB3_45
.LBB3_46:                               ;   in Loop: Header=BB3_43 Depth=4
	v_add_u32_e32 v0, s35, v21
	v_ashrrev_i32_e32 v1, 31, v0
	v_lshlrev_b64 v[0:1], 3, v[0:1]
	s_mov_b64 s[14:15], 0
	v_add_co_u32_e32 v18, vcc, v12, v0
	v_addc_co_u32_e32 v19, vcc, v20, v1, vcc
	global_load_dwordx2 v[2:3], v[18:19], off
.LBB3_47:                               ;   Parent Loop BB3_3 Depth=1
                                        ;     Parent Loop BB3_6 Depth=2
                                        ;       Parent Loop BB3_9 Depth=3
                                        ;         Parent Loop BB3_43 Depth=4
                                        ; =>        This Inner Loop Header: Depth=5
	s_waitcnt vmcnt(0)
	v_add_f64 v[0:1], v[2:3], v[16:17]
	global_atomic_cmpswap_x2 v[0:1], v[18:19], v[0:3], off glc
	s_waitcnt vmcnt(0)
	v_cmp_eq_u64_e32 vcc, v[0:1], v[2:3]
	v_mov_b32_e32 v3, v1
	s_or_b64 s[14:15], vcc, s[14:15]
	v_mov_b32_e32 v2, v0
	s_andn2_b64 exec, exec, s[14:15]
	s_cbranch_execnz .LBB3_47
; %bb.48:                               ;   in Loop: Header=BB3_43 Depth=4
	s_or_b64 exec, exec, s[14:15]
	s_add_i32 s35, s35, 1
	s_cmp_lg_u32 s35, s44
	v_add_u32_e32 v22, 1, v22
	s_cbranch_scc1 .LBB3_43
; %bb.49:                               ;   in Loop: Header=BB3_9 Depth=3
	v_add_u32_e32 v0, 2, v50
	v_mul_lo_u32 v0, s45, v0
	v_mov_b32_e32 v2, s23
	v_add_u32_e32 v21, s44, v21
	s_mov_b32 s35, 0
	v_ashrrev_i32_e32 v1, 31, v0
	v_lshlrev_b64 v[0:1], 3, v[0:1]
	v_mov_b32_e32 v22, v47
	v_add_co_u32_e32 v14, vcc, s22, v0
	v_addc_co_u32_e32 v15, vcc, v2, v1, vcc
.LBB3_50:                               ;   Parent Loop BB3_3 Depth=1
                                        ;     Parent Loop BB3_6 Depth=2
                                        ;       Parent Loop BB3_9 Depth=3
                                        ; =>      This Loop Header: Depth=4
                                        ;           Child Loop BB3_52 Depth 5
                                        ;           Child Loop BB3_54 Depth 5
	v_mov_b32_e32 v16, 0
	v_mov_b32_e32 v17, 0
	s_and_b64 vcc, exec, s[12:13]
	s_cbranch_vccnz .LBB3_53
; %bb.51:                               ;   in Loop: Header=BB3_50 Depth=4
	v_mov_b32_e32 v2, v14
	v_mov_b32_e32 v0, v22
	;; [unrolled: 1-line block ×3, first 2 shown]
	s_mov_b32 s14, s45
.LBB3_52:                               ;   Parent Loop BB3_3 Depth=1
                                        ;     Parent Loop BB3_6 Depth=2
                                        ;       Parent Loop BB3_9 Depth=3
                                        ;         Parent Loop BB3_50 Depth=4
                                        ; =>        This Inner Loop Header: Depth=5
	v_ashrrev_i32_e32 v1, 31, v0
	v_lshlrev_b64 v[23:24], 3, v[0:1]
	v_mov_b32_e32 v25, s17
	v_add_co_u32_e32 v23, vcc, s16, v23
	v_addc_co_u32_e32 v24, vcc, v25, v24, vcc
	global_load_dwordx2 v[18:19], v[2:3], off
	s_add_i32 s14, s14, -1
	global_load_dwordx2 v[23:24], v[23:24], off
	v_add_co_u32_e32 v2, vcc, 8, v2
	v_addc_co_u32_e32 v3, vcc, 0, v3, vcc
	s_cmp_lg_u32 s14, 0
	v_add_u32_e32 v0, 4, v0
	s_waitcnt vmcnt(0)
	v_fma_f64 v[16:17], v[23:24], v[18:19], v[16:17]
	s_cbranch_scc1 .LBB3_52
.LBB3_53:                               ;   in Loop: Header=BB3_50 Depth=4
	v_add_u32_e32 v0, s35, v21
	v_ashrrev_i32_e32 v1, 31, v0
	v_lshlrev_b64 v[0:1], 3, v[0:1]
	s_mov_b64 s[14:15], 0
	v_add_co_u32_e32 v18, vcc, v12, v0
	v_addc_co_u32_e32 v19, vcc, v20, v1, vcc
	global_load_dwordx2 v[2:3], v[18:19], off
.LBB3_54:                               ;   Parent Loop BB3_3 Depth=1
                                        ;     Parent Loop BB3_6 Depth=2
                                        ;       Parent Loop BB3_9 Depth=3
                                        ;         Parent Loop BB3_50 Depth=4
                                        ; =>        This Inner Loop Header: Depth=5
	s_waitcnt vmcnt(0)
	v_add_f64 v[0:1], v[2:3], v[16:17]
	global_atomic_cmpswap_x2 v[0:1], v[18:19], v[0:3], off glc
	s_waitcnt vmcnt(0)
	v_cmp_eq_u64_e32 vcc, v[0:1], v[2:3]
	v_mov_b32_e32 v3, v1
	s_or_b64 s[14:15], vcc, s[14:15]
	v_mov_b32_e32 v2, v0
	s_andn2_b64 exec, exec, s[14:15]
	s_cbranch_execnz .LBB3_54
; %bb.55:                               ;   in Loop: Header=BB3_50 Depth=4
	s_or_b64 exec, exec, s[14:15]
	s_add_i32 s35, s35, 1
	s_cmp_lg_u32 s35, s44
	v_add_u32_e32 v22, 1, v22
	s_cbranch_scc1 .LBB3_50
; %bb.56:                               ;   in Loop: Header=BB3_9 Depth=3
	v_add_u32_e32 v0, 3, v50
	v_mul_lo_u32 v0, s45, v0
	v_mov_b32_e32 v2, s23
	v_add_u32_e32 v21, s44, v21
	s_mov_b32 s35, 0
	v_ashrrev_i32_e32 v1, 31, v0
	v_lshlrev_b64 v[0:1], 3, v[0:1]
	v_mov_b32_e32 v22, v47
	v_add_co_u32_e32 v14, vcc, s22, v0
	v_addc_co_u32_e32 v15, vcc, v2, v1, vcc
.LBB3_57:                               ;   Parent Loop BB3_3 Depth=1
                                        ;     Parent Loop BB3_6 Depth=2
                                        ;       Parent Loop BB3_9 Depth=3
                                        ; =>      This Loop Header: Depth=4
                                        ;           Child Loop BB3_59 Depth 5
                                        ;           Child Loop BB3_61 Depth 5
	v_mov_b32_e32 v16, 0
	v_mov_b32_e32 v17, 0
	s_and_b64 vcc, exec, s[12:13]
	s_cbranch_vccnz .LBB3_60
; %bb.58:                               ;   in Loop: Header=BB3_57 Depth=4
	v_mov_b32_e32 v2, v14
	v_mov_b32_e32 v0, v22
	;; [unrolled: 1-line block ×3, first 2 shown]
	s_mov_b32 s14, s45
.LBB3_59:                               ;   Parent Loop BB3_3 Depth=1
                                        ;     Parent Loop BB3_6 Depth=2
                                        ;       Parent Loop BB3_9 Depth=3
                                        ;         Parent Loop BB3_57 Depth=4
                                        ; =>        This Inner Loop Header: Depth=5
	v_ashrrev_i32_e32 v1, 31, v0
	v_lshlrev_b64 v[23:24], 3, v[0:1]
	v_mov_b32_e32 v25, s17
	v_add_co_u32_e32 v23, vcc, s16, v23
	v_addc_co_u32_e32 v24, vcc, v25, v24, vcc
	global_load_dwordx2 v[18:19], v[2:3], off
	s_add_i32 s14, s14, -1
	global_load_dwordx2 v[23:24], v[23:24], off
	v_add_co_u32_e32 v2, vcc, 8, v2
	v_addc_co_u32_e32 v3, vcc, 0, v3, vcc
	s_cmp_lg_u32 s14, 0
	v_add_u32_e32 v0, 4, v0
	s_waitcnt vmcnt(0)
	v_fma_f64 v[16:17], v[23:24], v[18:19], v[16:17]
	s_cbranch_scc1 .LBB3_59
.LBB3_60:                               ;   in Loop: Header=BB3_57 Depth=4
	v_add_u32_e32 v0, s35, v21
	v_ashrrev_i32_e32 v1, 31, v0
	v_lshlrev_b64 v[0:1], 3, v[0:1]
	s_mov_b64 s[14:15], 0
	v_add_co_u32_e32 v18, vcc, v12, v0
	v_addc_co_u32_e32 v19, vcc, v20, v1, vcc
	global_load_dwordx2 v[2:3], v[18:19], off
.LBB3_61:                               ;   Parent Loop BB3_3 Depth=1
                                        ;     Parent Loop BB3_6 Depth=2
                                        ;       Parent Loop BB3_9 Depth=3
                                        ;         Parent Loop BB3_57 Depth=4
                                        ; =>        This Inner Loop Header: Depth=5
	s_waitcnt vmcnt(0)
	v_add_f64 v[0:1], v[2:3], v[16:17]
	global_atomic_cmpswap_x2 v[0:1], v[18:19], v[0:3], off glc
	s_waitcnt vmcnt(0)
	v_cmp_eq_u64_e32 vcc, v[0:1], v[2:3]
	v_mov_b32_e32 v3, v1
	s_or_b64 s[14:15], vcc, s[14:15]
	v_mov_b32_e32 v2, v0
	s_andn2_b64 exec, exec, s[14:15]
	s_cbranch_execnz .LBB3_61
; %bb.62:                               ;   in Loop: Header=BB3_57 Depth=4
	s_or_b64 exec, exec, s[14:15]
	s_add_i32 s35, s35, 1
	s_cmp_lg_u32 s35, s44
	v_add_u32_e32 v22, 1, v22
	s_cbranch_scc1 .LBB3_57
	s_branch .LBB3_8
.LBB3_63:
	s_endpgm
	.section	.rodata,"a",@progbits
	.p2align	6, 0x0
	.amdhsa_kernel _Z10wavefrontsiiiii10Dimensions11StepInfoAllPdS1_S1_S1_S1_S1_S1_S1_
		.amdhsa_group_segment_fixed_size 0
		.amdhsa_private_segment_fixed_size 0
		.amdhsa_kernarg_size 464
		.amdhsa_user_sgpr_count 6
		.amdhsa_user_sgpr_private_segment_buffer 1
		.amdhsa_user_sgpr_dispatch_ptr 0
		.amdhsa_user_sgpr_queue_ptr 0
		.amdhsa_user_sgpr_kernarg_segment_ptr 1
		.amdhsa_user_sgpr_dispatch_id 0
		.amdhsa_user_sgpr_flat_scratch_init 0
		.amdhsa_user_sgpr_private_segment_size 0
		.amdhsa_uses_dynamic_stack 0
		.amdhsa_system_sgpr_private_segment_wavefront_offset 0
		.amdhsa_system_sgpr_workgroup_id_x 1
		.amdhsa_system_sgpr_workgroup_id_y 1
		.amdhsa_system_sgpr_workgroup_id_z 0
		.amdhsa_system_sgpr_workgroup_info 0
		.amdhsa_system_vgpr_workitem_id 1
		.amdhsa_next_free_vgpr 62
		.amdhsa_next_free_sgpr 60
		.amdhsa_reserve_vcc 1
		.amdhsa_reserve_flat_scratch 0
		.amdhsa_float_round_mode_32 0
		.amdhsa_float_round_mode_16_64 0
		.amdhsa_float_denorm_mode_32 3
		.amdhsa_float_denorm_mode_16_64 3
		.amdhsa_dx10_clamp 1
		.amdhsa_ieee_mode 1
		.amdhsa_fp16_overflow 0
		.amdhsa_exception_fp_ieee_invalid_op 0
		.amdhsa_exception_fp_denorm_src 0
		.amdhsa_exception_fp_ieee_div_zero 0
		.amdhsa_exception_fp_ieee_overflow 0
		.amdhsa_exception_fp_ieee_underflow 0
		.amdhsa_exception_fp_ieee_inexact 0
		.amdhsa_exception_int_div_zero 0
	.end_amdhsa_kernel
	.text
.Lfunc_end3:
	.size	_Z10wavefrontsiiiii10Dimensions11StepInfoAllPdS1_S1_S1_S1_S1_S1_S1_, .Lfunc_end3-_Z10wavefrontsiiiii10Dimensions11StepInfoAllPdS1_S1_S1_S1_S1_S1_S1_
                                        ; -- End function
	.set _Z10wavefrontsiiiii10Dimensions11StepInfoAllPdS1_S1_S1_S1_S1_S1_S1_.num_vgpr, 62
	.set _Z10wavefrontsiiiii10Dimensions11StepInfoAllPdS1_S1_S1_S1_S1_S1_S1_.num_agpr, 0
	.set _Z10wavefrontsiiiii10Dimensions11StepInfoAllPdS1_S1_S1_S1_S1_S1_S1_.numbered_sgpr, 60
	.set _Z10wavefrontsiiiii10Dimensions11StepInfoAllPdS1_S1_S1_S1_S1_S1_S1_.num_named_barrier, 0
	.set _Z10wavefrontsiiiii10Dimensions11StepInfoAllPdS1_S1_S1_S1_S1_S1_S1_.private_seg_size, 0
	.set _Z10wavefrontsiiiii10Dimensions11StepInfoAllPdS1_S1_S1_S1_S1_S1_S1_.uses_vcc, 1
	.set _Z10wavefrontsiiiii10Dimensions11StepInfoAllPdS1_S1_S1_S1_S1_S1_S1_.uses_flat_scratch, 0
	.set _Z10wavefrontsiiiii10Dimensions11StepInfoAllPdS1_S1_S1_S1_S1_S1_S1_.has_dyn_sized_stack, 0
	.set _Z10wavefrontsiiiii10Dimensions11StepInfoAllPdS1_S1_S1_S1_S1_S1_S1_.has_recursion, 0
	.set _Z10wavefrontsiiiii10Dimensions11StepInfoAllPdS1_S1_S1_S1_S1_S1_S1_.has_indirect_call, 0
	.section	.AMDGPU.csdata,"",@progbits
; Kernel info:
; codeLenInByte = 4156
; TotalNumSgprs: 64
; NumVgprs: 62
; ScratchSize: 0
; MemoryBound: 0
; FloatMode: 240
; IeeeMode: 1
; LDSByteSize: 0 bytes/workgroup (compile time only)
; SGPRBlocks: 7
; VGPRBlocks: 15
; NumSGPRsForWavesPerEU: 64
; NumVGPRsForWavesPerEU: 62
; Occupancy: 4
; WaveLimiterHint : 0
; COMPUTE_PGM_RSRC2:SCRATCH_EN: 0
; COMPUTE_PGM_RSRC2:USER_SGPR: 6
; COMPUTE_PGM_RSRC2:TRAP_HANDLER: 0
; COMPUTE_PGM_RSRC2:TGID_X_EN: 1
; COMPUTE_PGM_RSRC2:TGID_Y_EN: 1
; COMPUTE_PGM_RSRC2:TGID_Z_EN: 0
; COMPUTE_PGM_RSRC2:TIDIG_COMP_CNT: 1
	.section	.AMDGPU.gpr_maximums,"",@progbits
	.set amdgpu.max_num_vgpr, 0
	.set amdgpu.max_num_agpr, 0
	.set amdgpu.max_num_sgpr, 0
	.section	.AMDGPU.csdata,"",@progbits
	.type	__hip_cuid_998a17f103dfe476,@object ; @__hip_cuid_998a17f103dfe476
	.section	.bss,"aw",@nobits
	.globl	__hip_cuid_998a17f103dfe476
__hip_cuid_998a17f103dfe476:
	.byte	0                               ; 0x0
	.size	__hip_cuid_998a17f103dfe476, 1

	.ident	"AMD clang version 22.0.0git (https://github.com/RadeonOpenCompute/llvm-project roc-7.2.4 26084 f58b06dce1f9c15707c5f808fd002e18c2accf7e)"
	.section	".note.GNU-stack","",@progbits
	.addrsig
	.addrsig_sym __hip_cuid_998a17f103dfe476
	.amdgpu_metadata
---
amdhsa.kernels:
  - .args:
      - .offset:         0
        .size:           4
        .value_kind:     by_value
      - .offset:         4
        .size:           4
        .value_kind:     by_value
      - .offset:         8
        .size:           4
        .value_kind:     by_value
      - .offset:         12
        .size:           4
        .value_kind:     by_value
      - .offset:         16
        .size:           4
        .value_kind:     by_value
      - .offset:         20
        .size:           4
        .value_kind:     by_value
      - .offset:         24
        .size:           4
        .value_kind:     by_value
      - .offset:         28
        .size:           4
        .value_kind:     by_value
      - .address_space:  global
        .offset:         32
        .size:           8
        .value_kind:     global_buffer
      - .offset:         40
        .size:           4
        .value_kind:     hidden_block_count_x
      - .offset:         44
        .size:           4
        .value_kind:     hidden_block_count_y
      - .offset:         48
        .size:           4
        .value_kind:     hidden_block_count_z
      - .offset:         52
        .size:           2
        .value_kind:     hidden_group_size_x
      - .offset:         54
        .size:           2
        .value_kind:     hidden_group_size_y
      - .offset:         56
        .size:           2
        .value_kind:     hidden_group_size_z
      - .offset:         58
        .size:           2
        .value_kind:     hidden_remainder_x
      - .offset:         60
        .size:           2
        .value_kind:     hidden_remainder_y
      - .offset:         62
        .size:           2
        .value_kind:     hidden_remainder_z
      - .offset:         80
        .size:           8
        .value_kind:     hidden_global_offset_x
      - .offset:         88
        .size:           8
        .value_kind:     hidden_global_offset_y
      - .offset:         96
        .size:           8
        .value_kind:     hidden_global_offset_z
      - .offset:         104
        .size:           2
        .value_kind:     hidden_grid_dims
    .group_segment_fixed_size: 0
    .kernarg_segment_align: 8
    .kernarg_segment_size: 296
    .language:       OpenCL C
    .language_version:
      - 2
      - 0
    .max_flat_workgroup_size: 1024
    .name:           _Z11init_facexyiiiiiiiiPd
    .private_segment_fixed_size: 0
    .sgpr_count:     20
    .sgpr_spill_count: 0
    .symbol:         _Z11init_facexyiiiiiiiiPd.kd
    .uniform_work_group_size: 1
    .uses_dynamic_stack: false
    .vgpr_count:     21
    .vgpr_spill_count: 0
    .wavefront_size: 64
  - .args:
      - .offset:         0
        .size:           4
        .value_kind:     by_value
      - .offset:         4
        .size:           4
        .value_kind:     by_value
      - .offset:         8
        .size:           4
        .value_kind:     by_value
      - .offset:         12
        .size:           4
        .value_kind:     by_value
      - .offset:         16
        .size:           4
        .value_kind:     by_value
      - .offset:         20
        .size:           4
        .value_kind:     by_value
      - .offset:         24
        .size:           4
        .value_kind:     by_value
      - .offset:         28
        .size:           4
        .value_kind:     by_value
      - .offset:         32
        .size:           4
        .value_kind:     by_value
      - .offset:         36
        .size:           96
        .value_kind:     by_value
      - .address_space:  global
        .offset:         136
        .size:           8
        .value_kind:     global_buffer
      - .offset:         144
        .size:           4
        .value_kind:     hidden_block_count_x
      - .offset:         148
        .size:           4
        .value_kind:     hidden_block_count_y
      - .offset:         152
        .size:           4
        .value_kind:     hidden_block_count_z
      - .offset:         156
        .size:           2
        .value_kind:     hidden_group_size_x
      - .offset:         158
        .size:           2
        .value_kind:     hidden_group_size_y
      - .offset:         160
        .size:           2
        .value_kind:     hidden_group_size_z
      - .offset:         162
        .size:           2
        .value_kind:     hidden_remainder_x
      - .offset:         164
        .size:           2
        .value_kind:     hidden_remainder_y
      - .offset:         166
        .size:           2
        .value_kind:     hidden_remainder_z
      - .offset:         184
        .size:           8
        .value_kind:     hidden_global_offset_x
      - .offset:         192
        .size:           8
        .value_kind:     hidden_global_offset_y
      - .offset:         200
        .size:           8
        .value_kind:     hidden_global_offset_z
      - .offset:         208
        .size:           2
        .value_kind:     hidden_grid_dims
    .group_segment_fixed_size: 0
    .kernarg_segment_align: 8
    .kernarg_segment_size: 400
    .language:       OpenCL C
    .language_version:
      - 2
      - 0
    .max_flat_workgroup_size: 1024
    .name:           _Z11init_facexziiiiiiiii11StepInfoAllPd
    .private_segment_fixed_size: 0
    .sgpr_count:     24
    .sgpr_spill_count: 0
    .symbol:         _Z11init_facexziiiiiiiii11StepInfoAllPd.kd
    .uniform_work_group_size: 1
    .uses_dynamic_stack: false
    .vgpr_count:     19
    .vgpr_spill_count: 0
    .wavefront_size: 64
  - .args:
      - .offset:         0
        .size:           4
        .value_kind:     by_value
      - .offset:         4
        .size:           4
        .value_kind:     by_value
      - .offset:         8
        .size:           4
        .value_kind:     by_value
      - .offset:         12
        .size:           4
        .value_kind:     by_value
      - .offset:         16
        .size:           4
        .value_kind:     by_value
      - .offset:         20
        .size:           4
        .value_kind:     by_value
      - .offset:         24
        .size:           4
        .value_kind:     by_value
      - .offset:         28
        .size:           4
        .value_kind:     by_value
      - .offset:         32
        .size:           4
        .value_kind:     by_value
      - .offset:         36
        .size:           96
        .value_kind:     by_value
      - .address_space:  global
        .offset:         136
        .size:           8
        .value_kind:     global_buffer
      - .offset:         144
        .size:           4
        .value_kind:     hidden_block_count_x
      - .offset:         148
        .size:           4
        .value_kind:     hidden_block_count_y
      - .offset:         152
        .size:           4
        .value_kind:     hidden_block_count_z
      - .offset:         156
        .size:           2
        .value_kind:     hidden_group_size_x
      - .offset:         158
        .size:           2
        .value_kind:     hidden_group_size_y
      - .offset:         160
        .size:           2
        .value_kind:     hidden_group_size_z
      - .offset:         162
        .size:           2
        .value_kind:     hidden_remainder_x
      - .offset:         164
        .size:           2
        .value_kind:     hidden_remainder_y
      - .offset:         166
        .size:           2
        .value_kind:     hidden_remainder_z
      - .offset:         184
        .size:           8
        .value_kind:     hidden_global_offset_x
      - .offset:         192
        .size:           8
        .value_kind:     hidden_global_offset_y
      - .offset:         200
        .size:           8
        .value_kind:     hidden_global_offset_z
      - .offset:         208
        .size:           2
        .value_kind:     hidden_grid_dims
    .group_segment_fixed_size: 0
    .kernarg_segment_align: 8
    .kernarg_segment_size: 400
    .language:       OpenCL C
    .language_version:
      - 2
      - 0
    .max_flat_workgroup_size: 1024
    .name:           _Z11init_faceyziiiiiiiii11StepInfoAllPd
    .private_segment_fixed_size: 0
    .sgpr_count:     24
    .sgpr_spill_count: 0
    .symbol:         _Z11init_faceyziiiiiiiii11StepInfoAllPd.kd
    .uniform_work_group_size: 1
    .uses_dynamic_stack: false
    .vgpr_count:     19
    .vgpr_spill_count: 0
    .wavefront_size: 64
  - .args:
      - .offset:         0
        .size:           4
        .value_kind:     by_value
      - .offset:         4
        .size:           4
        .value_kind:     by_value
      - .offset:         8
        .size:           4
        .value_kind:     by_value
      - .offset:         12
        .size:           4
        .value_kind:     by_value
      - .offset:         16
        .size:           4
        .value_kind:     by_value
      - .offset:         20
        .size:           24
        .value_kind:     by_value
      - .offset:         44
        .size:           96
        .value_kind:     by_value
      - .address_space:  global
        .offset:         144
        .size:           8
        .value_kind:     global_buffer
      - .address_space:  global
        .offset:         152
        .size:           8
        .value_kind:     global_buffer
      - .address_space:  global
        .offset:         160
        .size:           8
        .value_kind:     global_buffer
      - .actual_access:  read_only
        .address_space:  global
        .offset:         168
        .size:           8
        .value_kind:     global_buffer
      - .actual_access:  read_only
        .address_space:  global
        .offset:         176
        .size:           8
        .value_kind:     global_buffer
      - .actual_access:  read_only
        .address_space:  global
        .offset:         184
        .size:           8
        .value_kind:     global_buffer
      - .address_space:  global
        .offset:         192
        .size:           8
        .value_kind:     global_buffer
      - .address_space:  global
        .offset:         200
        .size:           8
        .value_kind:     global_buffer
      - .offset:         208
        .size:           4
        .value_kind:     hidden_block_count_x
      - .offset:         212
        .size:           4
        .value_kind:     hidden_block_count_y
      - .offset:         216
        .size:           4
        .value_kind:     hidden_block_count_z
      - .offset:         220
        .size:           2
        .value_kind:     hidden_group_size_x
      - .offset:         222
        .size:           2
        .value_kind:     hidden_group_size_y
      - .offset:         224
        .size:           2
        .value_kind:     hidden_group_size_z
      - .offset:         226
        .size:           2
        .value_kind:     hidden_remainder_x
      - .offset:         228
        .size:           2
        .value_kind:     hidden_remainder_y
      - .offset:         230
        .size:           2
        .value_kind:     hidden_remainder_z
      - .offset:         248
        .size:           8
        .value_kind:     hidden_global_offset_x
      - .offset:         256
        .size:           8
        .value_kind:     hidden_global_offset_y
      - .offset:         264
        .size:           8
        .value_kind:     hidden_global_offset_z
      - .offset:         272
        .size:           2
        .value_kind:     hidden_grid_dims
    .group_segment_fixed_size: 0
    .kernarg_segment_align: 8
    .kernarg_segment_size: 464
    .language:       OpenCL C
    .language_version:
      - 2
      - 0
    .max_flat_workgroup_size: 1024
    .name:           _Z10wavefrontsiiiii10Dimensions11StepInfoAllPdS1_S1_S1_S1_S1_S1_S1_
    .private_segment_fixed_size: 0
    .sgpr_count:     64
    .sgpr_spill_count: 0
    .symbol:         _Z10wavefrontsiiiii10Dimensions11StepInfoAllPdS1_S1_S1_S1_S1_S1_S1_.kd
    .uniform_work_group_size: 1
    .uses_dynamic_stack: false
    .vgpr_count:     62
    .vgpr_spill_count: 0
    .wavefront_size: 64
amdhsa.target:   amdgcn-amd-amdhsa--gfx906
amdhsa.version:
  - 1
  - 2
...

	.end_amdgpu_metadata
